;; amdgpu-corpus repo=ROCm/rocSPARSE kind=compiled arch=gfx906 opt=O3
	.amdgcn_target "amdgcn-amd-amdhsa--gfx906"
	.amdhsa_code_object_version 6
	.section	.text._ZN9rocsparseL34csrgemm_symbolic_max_row_nnz_part1ILj256EiiEEvT1_PKT0_PS1_,"axG",@progbits,_ZN9rocsparseL34csrgemm_symbolic_max_row_nnz_part1ILj256EiiEEvT1_PKT0_PS1_,comdat
	.globl	_ZN9rocsparseL34csrgemm_symbolic_max_row_nnz_part1ILj256EiiEEvT1_PKT0_PS1_ ; -- Begin function _ZN9rocsparseL34csrgemm_symbolic_max_row_nnz_part1ILj256EiiEEvT1_PKT0_PS1_
	.p2align	8
	.type	_ZN9rocsparseL34csrgemm_symbolic_max_row_nnz_part1ILj256EiiEEvT1_PKT0_PS1_,@function
_ZN9rocsparseL34csrgemm_symbolic_max_row_nnz_part1ILj256EiiEEvT1_PKT0_PS1_: ; @_ZN9rocsparseL34csrgemm_symbolic_max_row_nnz_part1ILj256EiiEEvT1_PKT0_PS1_
; %bb.0:
	s_load_dword s7, s[4:5], 0x0
	s_load_dwordx2 s[0:1], s[4:5], 0x10
	v_lshl_or_b32 v1, s6, 8, v0
	v_mov_b32_e32 v3, 0
	s_waitcnt lgkmcnt(0)
	v_cmp_gt_i32_e32 vcc, s7, v1
	s_and_saveexec_b64 s[2:3], vcc
	s_cbranch_execz .LBB0_4
; %bb.1:
	s_load_dword s10, s[4:5], 0x18
	s_load_dwordx2 s[8:9], s[4:5], 0x8
	v_mov_b32_e32 v3, 0
	s_mov_b64 s[4:5], 0
	s_waitcnt lgkmcnt(0)
	s_lshl_b32 s10, s10, 8
	v_mov_b32_e32 v4, s9
.LBB0_2:                                ; =>This Inner Loop Header: Depth=1
	v_ashrrev_i32_e32 v2, 31, v1
	v_lshlrev_b64 v[5:6], 2, v[1:2]
	v_add_u32_e32 v1, s10, v1
	v_add_co_u32_e32 v5, vcc, s8, v5
	v_addc_co_u32_e32 v6, vcc, v4, v6, vcc
	global_load_dwordx2 v[5:6], v[5:6], off
	v_cmp_le_i32_e32 vcc, s7, v1
	s_or_b64 s[4:5], vcc, s[4:5]
	s_waitcnt vmcnt(0)
	v_sub_u32_e32 v2, v6, v5
	v_max_i32_e32 v3, v3, v2
	s_andn2_b64 exec, exec, s[4:5]
	s_cbranch_execnz .LBB0_2
; %bb.3:
	s_or_b64 exec, exec, s[4:5]
.LBB0_4:
	s_or_b64 exec, exec, s[2:3]
	s_movk_i32 s2, 0x80
	v_lshlrev_b32_e32 v1, 2, v0
	v_cmp_gt_u32_e32 vcc, s2, v0
	ds_write_b32 v1, v3
	s_waitcnt lgkmcnt(0)
	s_barrier
	s_and_saveexec_b64 s[2:3], vcc
	s_cbranch_execz .LBB0_6
; %bb.5:
	ds_read2st64_b32 v[2:3], v1 offset1:2
	s_waitcnt lgkmcnt(0)
	v_max_i32_e32 v2, v2, v3
	ds_write_b32 v1, v2
.LBB0_6:
	s_or_b64 exec, exec, s[2:3]
	v_cmp_gt_u32_e32 vcc, 64, v0
	s_waitcnt lgkmcnt(0)
	s_barrier
	s_and_saveexec_b64 s[2:3], vcc
	s_cbranch_execz .LBB0_8
; %bb.7:
	ds_read2st64_b32 v[2:3], v1 offset1:1
	s_waitcnt lgkmcnt(0)
	v_max_i32_e32 v2, v2, v3
	ds_write_b32 v1, v2
.LBB0_8:
	s_or_b64 exec, exec, s[2:3]
	v_cmp_gt_u32_e32 vcc, 32, v0
	s_waitcnt lgkmcnt(0)
	s_barrier
	s_and_saveexec_b64 s[2:3], vcc
	s_cbranch_execz .LBB0_10
; %bb.9:
	ds_read2_b32 v[2:3], v1 offset1:32
	s_waitcnt lgkmcnt(0)
	v_max_i32_e32 v2, v2, v3
	ds_write_b32 v1, v2
.LBB0_10:
	s_or_b64 exec, exec, s[2:3]
	v_cmp_gt_u32_e32 vcc, 16, v0
	s_waitcnt lgkmcnt(0)
	s_barrier
	s_and_saveexec_b64 s[2:3], vcc
	s_cbranch_execz .LBB0_12
; %bb.11:
	ds_read2_b32 v[2:3], v1 offset1:16
	s_waitcnt lgkmcnt(0)
	v_max_i32_e32 v2, v2, v3
	ds_write_b32 v1, v2
.LBB0_12:
	;; [unrolled: 12-line block ×5, first 2 shown]
	s_or_b64 exec, exec, s[2:3]
	v_cmp_eq_u32_e32 vcc, 0, v0
	s_waitcnt lgkmcnt(0)
	s_barrier
	s_and_saveexec_b64 s[2:3], vcc
	s_cbranch_execz .LBB0_20
; %bb.19:
	v_mov_b32_e32 v2, 0
	ds_read_b64 v[0:1], v2
	s_waitcnt lgkmcnt(0)
	v_max_i32_e32 v0, v0, v1
	ds_write_b32 v2, v0
.LBB0_20:
	s_or_b64 exec, exec, s[2:3]
	s_waitcnt lgkmcnt(0)
	s_barrier
	s_and_saveexec_b64 s[2:3], vcc
	s_cbranch_execz .LBB0_22
; %bb.21:
	v_mov_b32_e32 v0, 0
	ds_read_b32 v1, v0
	s_mov_b32 s7, 0
	s_lshl_b64 s[2:3], s[6:7], 2
	s_add_u32 s0, s0, s2
	s_addc_u32 s1, s1, s3
	s_waitcnt lgkmcnt(0)
	global_store_dword v0, v1, s[0:1]
.LBB0_22:
	s_endpgm
	.section	.rodata,"a",@progbits
	.p2align	6, 0x0
	.amdhsa_kernel _ZN9rocsparseL34csrgemm_symbolic_max_row_nnz_part1ILj256EiiEEvT1_PKT0_PS1_
		.amdhsa_group_segment_fixed_size 1024
		.amdhsa_private_segment_fixed_size 0
		.amdhsa_kernarg_size 280
		.amdhsa_user_sgpr_count 6
		.amdhsa_user_sgpr_private_segment_buffer 1
		.amdhsa_user_sgpr_dispatch_ptr 0
		.amdhsa_user_sgpr_queue_ptr 0
		.amdhsa_user_sgpr_kernarg_segment_ptr 1
		.amdhsa_user_sgpr_dispatch_id 0
		.amdhsa_user_sgpr_flat_scratch_init 0
		.amdhsa_user_sgpr_private_segment_size 0
		.amdhsa_uses_dynamic_stack 0
		.amdhsa_system_sgpr_private_segment_wavefront_offset 0
		.amdhsa_system_sgpr_workgroup_id_x 1
		.amdhsa_system_sgpr_workgroup_id_y 0
		.amdhsa_system_sgpr_workgroup_id_z 0
		.amdhsa_system_sgpr_workgroup_info 0
		.amdhsa_system_vgpr_workitem_id 0
		.amdhsa_next_free_vgpr 7
		.amdhsa_next_free_sgpr 11
		.amdhsa_reserve_vcc 1
		.amdhsa_reserve_flat_scratch 0
		.amdhsa_float_round_mode_32 0
		.amdhsa_float_round_mode_16_64 0
		.amdhsa_float_denorm_mode_32 3
		.amdhsa_float_denorm_mode_16_64 3
		.amdhsa_dx10_clamp 1
		.amdhsa_ieee_mode 1
		.amdhsa_fp16_overflow 0
		.amdhsa_exception_fp_ieee_invalid_op 0
		.amdhsa_exception_fp_denorm_src 0
		.amdhsa_exception_fp_ieee_div_zero 0
		.amdhsa_exception_fp_ieee_overflow 0
		.amdhsa_exception_fp_ieee_underflow 0
		.amdhsa_exception_fp_ieee_inexact 0
		.amdhsa_exception_int_div_zero 0
	.end_amdhsa_kernel
	.section	.text._ZN9rocsparseL34csrgemm_symbolic_max_row_nnz_part1ILj256EiiEEvT1_PKT0_PS1_,"axG",@progbits,_ZN9rocsparseL34csrgemm_symbolic_max_row_nnz_part1ILj256EiiEEvT1_PKT0_PS1_,comdat
.Lfunc_end0:
	.size	_ZN9rocsparseL34csrgemm_symbolic_max_row_nnz_part1ILj256EiiEEvT1_PKT0_PS1_, .Lfunc_end0-_ZN9rocsparseL34csrgemm_symbolic_max_row_nnz_part1ILj256EiiEEvT1_PKT0_PS1_
                                        ; -- End function
	.set _ZN9rocsparseL34csrgemm_symbolic_max_row_nnz_part1ILj256EiiEEvT1_PKT0_PS1_.num_vgpr, 7
	.set _ZN9rocsparseL34csrgemm_symbolic_max_row_nnz_part1ILj256EiiEEvT1_PKT0_PS1_.num_agpr, 0
	.set _ZN9rocsparseL34csrgemm_symbolic_max_row_nnz_part1ILj256EiiEEvT1_PKT0_PS1_.numbered_sgpr, 11
	.set _ZN9rocsparseL34csrgemm_symbolic_max_row_nnz_part1ILj256EiiEEvT1_PKT0_PS1_.num_named_barrier, 0
	.set _ZN9rocsparseL34csrgemm_symbolic_max_row_nnz_part1ILj256EiiEEvT1_PKT0_PS1_.private_seg_size, 0
	.set _ZN9rocsparseL34csrgemm_symbolic_max_row_nnz_part1ILj256EiiEEvT1_PKT0_PS1_.uses_vcc, 1
	.set _ZN9rocsparseL34csrgemm_symbolic_max_row_nnz_part1ILj256EiiEEvT1_PKT0_PS1_.uses_flat_scratch, 0
	.set _ZN9rocsparseL34csrgemm_symbolic_max_row_nnz_part1ILj256EiiEEvT1_PKT0_PS1_.has_dyn_sized_stack, 0
	.set _ZN9rocsparseL34csrgemm_symbolic_max_row_nnz_part1ILj256EiiEEvT1_PKT0_PS1_.has_recursion, 0
	.set _ZN9rocsparseL34csrgemm_symbolic_max_row_nnz_part1ILj256EiiEEvT1_PKT0_PS1_.has_indirect_call, 0
	.section	.AMDGPU.csdata,"",@progbits
; Kernel info:
; codeLenInByte = 612
; TotalNumSgprs: 15
; NumVgprs: 7
; ScratchSize: 0
; MemoryBound: 0
; FloatMode: 240
; IeeeMode: 1
; LDSByteSize: 1024 bytes/workgroup (compile time only)
; SGPRBlocks: 1
; VGPRBlocks: 1
; NumSGPRsForWavesPerEU: 15
; NumVGPRsForWavesPerEU: 7
; Occupancy: 10
; WaveLimiterHint : 0
; COMPUTE_PGM_RSRC2:SCRATCH_EN: 0
; COMPUTE_PGM_RSRC2:USER_SGPR: 6
; COMPUTE_PGM_RSRC2:TRAP_HANDLER: 0
; COMPUTE_PGM_RSRC2:TGID_X_EN: 1
; COMPUTE_PGM_RSRC2:TGID_Y_EN: 0
; COMPUTE_PGM_RSRC2:TGID_Z_EN: 0
; COMPUTE_PGM_RSRC2:TIDIG_COMP_CNT: 0
	.section	.text._ZN9rocsparseL34csrgemm_symbolic_max_row_nnz_part2ILj256EiEEvPT0_,"axG",@progbits,_ZN9rocsparseL34csrgemm_symbolic_max_row_nnz_part2ILj256EiEEvPT0_,comdat
	.globl	_ZN9rocsparseL34csrgemm_symbolic_max_row_nnz_part2ILj256EiEEvPT0_ ; -- Begin function _ZN9rocsparseL34csrgemm_symbolic_max_row_nnz_part2ILj256EiEEvPT0_
	.p2align	8
	.type	_ZN9rocsparseL34csrgemm_symbolic_max_row_nnz_part2ILj256EiEEvPT0_,@function
_ZN9rocsparseL34csrgemm_symbolic_max_row_nnz_part2ILj256EiEEvPT0_: ; @_ZN9rocsparseL34csrgemm_symbolic_max_row_nnz_part2ILj256EiEEvPT0_
; %bb.0:
	s_load_dwordx2 s[0:1], s[4:5], 0x0
	v_lshlrev_b32_e32 v1, 2, v0
	s_movk_i32 s2, 0x80
	v_cmp_gt_u32_e32 vcc, s2, v0
	s_waitcnt lgkmcnt(0)
	global_load_dword v2, v1, s[0:1]
	s_waitcnt vmcnt(0)
	ds_write_b32 v1, v2
	s_waitcnt lgkmcnt(0)
	s_barrier
	s_and_saveexec_b64 s[2:3], vcc
	s_cbranch_execz .LBB1_2
; %bb.1:
	ds_read2st64_b32 v[2:3], v1 offset1:2
	s_waitcnt lgkmcnt(0)
	v_max_i32_e32 v2, v2, v3
	ds_write_b32 v1, v2
.LBB1_2:
	s_or_b64 exec, exec, s[2:3]
	v_cmp_gt_u32_e32 vcc, 64, v0
	s_waitcnt lgkmcnt(0)
	s_barrier
	s_and_saveexec_b64 s[2:3], vcc
	s_cbranch_execz .LBB1_4
; %bb.3:
	ds_read2st64_b32 v[2:3], v1 offset1:1
	s_waitcnt lgkmcnt(0)
	v_max_i32_e32 v2, v2, v3
	ds_write_b32 v1, v2
.LBB1_4:
	s_or_b64 exec, exec, s[2:3]
	v_cmp_gt_u32_e32 vcc, 32, v0
	s_waitcnt lgkmcnt(0)
	s_barrier
	s_and_saveexec_b64 s[2:3], vcc
	s_cbranch_execz .LBB1_6
; %bb.5:
	ds_read2_b32 v[2:3], v1 offset1:32
	s_waitcnt lgkmcnt(0)
	v_max_i32_e32 v2, v2, v3
	ds_write_b32 v1, v2
.LBB1_6:
	s_or_b64 exec, exec, s[2:3]
	v_cmp_gt_u32_e32 vcc, 16, v0
	s_waitcnt lgkmcnt(0)
	s_barrier
	s_and_saveexec_b64 s[2:3], vcc
	s_cbranch_execz .LBB1_8
; %bb.7:
	ds_read2_b32 v[2:3], v1 offset1:16
	s_waitcnt lgkmcnt(0)
	v_max_i32_e32 v2, v2, v3
	ds_write_b32 v1, v2
.LBB1_8:
	s_or_b64 exec, exec, s[2:3]
	v_cmp_gt_u32_e32 vcc, 8, v0
	s_waitcnt lgkmcnt(0)
	s_barrier
	s_and_saveexec_b64 s[2:3], vcc
	s_cbranch_execz .LBB1_10
; %bb.9:
	ds_read2_b32 v[2:3], v1 offset1:8
	s_waitcnt lgkmcnt(0)
	v_max_i32_e32 v2, v2, v3
	ds_write_b32 v1, v2
.LBB1_10:
	s_or_b64 exec, exec, s[2:3]
	v_cmp_gt_u32_e32 vcc, 4, v0
	s_waitcnt lgkmcnt(0)
	s_barrier
	s_and_saveexec_b64 s[2:3], vcc
	s_cbranch_execz .LBB1_12
; %bb.11:
	ds_read2_b32 v[2:3], v1 offset1:4
	s_waitcnt lgkmcnt(0)
	v_max_i32_e32 v2, v2, v3
	ds_write_b32 v1, v2
.LBB1_12:
	s_or_b64 exec, exec, s[2:3]
	v_cmp_gt_u32_e32 vcc, 2, v0
	s_waitcnt lgkmcnt(0)
	s_barrier
	s_and_saveexec_b64 s[2:3], vcc
	s_cbranch_execz .LBB1_14
; %bb.13:
	ds_read2_b32 v[2:3], v1 offset1:2
	s_waitcnt lgkmcnt(0)
	v_max_i32_e32 v2, v2, v3
	ds_write_b32 v1, v2
.LBB1_14:
	s_or_b64 exec, exec, s[2:3]
	v_cmp_eq_u32_e32 vcc, 0, v0
	s_waitcnt lgkmcnt(0)
	s_barrier
	s_and_saveexec_b64 s[2:3], vcc
	s_cbranch_execz .LBB1_16
; %bb.15:
	v_mov_b32_e32 v2, 0
	ds_read_b64 v[0:1], v2
	s_waitcnt lgkmcnt(0)
	v_max_i32_e32 v0, v0, v1
	ds_write_b32 v2, v0
.LBB1_16:
	s_or_b64 exec, exec, s[2:3]
	s_waitcnt lgkmcnt(0)
	s_barrier
	s_and_saveexec_b64 s[2:3], vcc
	s_cbranch_execz .LBB1_18
; %bb.17:
	v_mov_b32_e32 v0, 0
	ds_read_b32 v1, v0
	s_waitcnt lgkmcnt(0)
	global_store_dword v0, v1, s[0:1]
.LBB1_18:
	s_endpgm
	.section	.rodata,"a",@progbits
	.p2align	6, 0x0
	.amdhsa_kernel _ZN9rocsparseL34csrgemm_symbolic_max_row_nnz_part2ILj256EiEEvPT0_
		.amdhsa_group_segment_fixed_size 1024
		.amdhsa_private_segment_fixed_size 0
		.amdhsa_kernarg_size 8
		.amdhsa_user_sgpr_count 6
		.amdhsa_user_sgpr_private_segment_buffer 1
		.amdhsa_user_sgpr_dispatch_ptr 0
		.amdhsa_user_sgpr_queue_ptr 0
		.amdhsa_user_sgpr_kernarg_segment_ptr 1
		.amdhsa_user_sgpr_dispatch_id 0
		.amdhsa_user_sgpr_flat_scratch_init 0
		.amdhsa_user_sgpr_private_segment_size 0
		.amdhsa_uses_dynamic_stack 0
		.amdhsa_system_sgpr_private_segment_wavefront_offset 0
		.amdhsa_system_sgpr_workgroup_id_x 1
		.amdhsa_system_sgpr_workgroup_id_y 0
		.amdhsa_system_sgpr_workgroup_id_z 0
		.amdhsa_system_sgpr_workgroup_info 0
		.amdhsa_system_vgpr_workitem_id 0
		.amdhsa_next_free_vgpr 4
		.amdhsa_next_free_sgpr 6
		.amdhsa_reserve_vcc 1
		.amdhsa_reserve_flat_scratch 0
		.amdhsa_float_round_mode_32 0
		.amdhsa_float_round_mode_16_64 0
		.amdhsa_float_denorm_mode_32 3
		.amdhsa_float_denorm_mode_16_64 3
		.amdhsa_dx10_clamp 1
		.amdhsa_ieee_mode 1
		.amdhsa_fp16_overflow 0
		.amdhsa_exception_fp_ieee_invalid_op 0
		.amdhsa_exception_fp_denorm_src 0
		.amdhsa_exception_fp_ieee_div_zero 0
		.amdhsa_exception_fp_ieee_overflow 0
		.amdhsa_exception_fp_ieee_underflow 0
		.amdhsa_exception_fp_ieee_inexact 0
		.amdhsa_exception_int_div_zero 0
	.end_amdhsa_kernel
	.section	.text._ZN9rocsparseL34csrgemm_symbolic_max_row_nnz_part2ILj256EiEEvPT0_,"axG",@progbits,_ZN9rocsparseL34csrgemm_symbolic_max_row_nnz_part2ILj256EiEEvPT0_,comdat
.Lfunc_end1:
	.size	_ZN9rocsparseL34csrgemm_symbolic_max_row_nnz_part2ILj256EiEEvPT0_, .Lfunc_end1-_ZN9rocsparseL34csrgemm_symbolic_max_row_nnz_part2ILj256EiEEvPT0_
                                        ; -- End function
	.set _ZN9rocsparseL34csrgemm_symbolic_max_row_nnz_part2ILj256EiEEvPT0_.num_vgpr, 4
	.set _ZN9rocsparseL34csrgemm_symbolic_max_row_nnz_part2ILj256EiEEvPT0_.num_agpr, 0
	.set _ZN9rocsparseL34csrgemm_symbolic_max_row_nnz_part2ILj256EiEEvPT0_.numbered_sgpr, 6
	.set _ZN9rocsparseL34csrgemm_symbolic_max_row_nnz_part2ILj256EiEEvPT0_.num_named_barrier, 0
	.set _ZN9rocsparseL34csrgemm_symbolic_max_row_nnz_part2ILj256EiEEvPT0_.private_seg_size, 0
	.set _ZN9rocsparseL34csrgemm_symbolic_max_row_nnz_part2ILj256EiEEvPT0_.uses_vcc, 1
	.set _ZN9rocsparseL34csrgemm_symbolic_max_row_nnz_part2ILj256EiEEvPT0_.uses_flat_scratch, 0
	.set _ZN9rocsparseL34csrgemm_symbolic_max_row_nnz_part2ILj256EiEEvPT0_.has_dyn_sized_stack, 0
	.set _ZN9rocsparseL34csrgemm_symbolic_max_row_nnz_part2ILj256EiEEvPT0_.has_recursion, 0
	.set _ZN9rocsparseL34csrgemm_symbolic_max_row_nnz_part2ILj256EiEEvPT0_.has_indirect_call, 0
	.section	.AMDGPU.csdata,"",@progbits
; Kernel info:
; codeLenInByte = 472
; TotalNumSgprs: 10
; NumVgprs: 4
; ScratchSize: 0
; MemoryBound: 0
; FloatMode: 240
; IeeeMode: 1
; LDSByteSize: 1024 bytes/workgroup (compile time only)
; SGPRBlocks: 1
; VGPRBlocks: 0
; NumSGPRsForWavesPerEU: 10
; NumVGPRsForWavesPerEU: 4
; Occupancy: 10
; WaveLimiterHint : 0
; COMPUTE_PGM_RSRC2:SCRATCH_EN: 0
; COMPUTE_PGM_RSRC2:USER_SGPR: 6
; COMPUTE_PGM_RSRC2:TRAP_HANDLER: 0
; COMPUTE_PGM_RSRC2:TGID_X_EN: 1
; COMPUTE_PGM_RSRC2:TGID_Y_EN: 0
; COMPUTE_PGM_RSRC2:TGID_Z_EN: 0
; COMPUTE_PGM_RSRC2:TIDIG_COMP_CNT: 0
	.section	.text._ZN9rocsparseL35csrgemm_symbolic_group_reduce_part2ILj256ELj11EiiEEvT2_PKT1_PS1_Pij,"axG",@progbits,_ZN9rocsparseL35csrgemm_symbolic_group_reduce_part2ILj256ELj11EiiEEvT2_PKT1_PS1_Pij,comdat
	.globl	_ZN9rocsparseL35csrgemm_symbolic_group_reduce_part2ILj256ELj11EiiEEvT2_PKT1_PS1_Pij ; -- Begin function _ZN9rocsparseL35csrgemm_symbolic_group_reduce_part2ILj256ELj11EiiEEvT2_PKT1_PS1_Pij
	.p2align	8
	.type	_ZN9rocsparseL35csrgemm_symbolic_group_reduce_part2ILj256ELj11EiiEEvT2_PKT1_PS1_Pij,@function
_ZN9rocsparseL35csrgemm_symbolic_group_reduce_part2ILj256ELj11EiiEEvT2_PKT1_PS1_Pij: ; @_ZN9rocsparseL35csrgemm_symbolic_group_reduce_part2ILj256ELj11EiiEEvT2_PKT1_PS1_Pij
; %bb.0:
	s_load_dword s7, s[4:5], 0x0
	s_load_dwordx2 s[0:1], s[4:5], 0x10
	v_lshl_or_b32 v1, s6, 8, v0
	v_mul_u32_u24_e32 v4, 44, v0
	v_mov_b32_e32 v5, 0
	s_waitcnt lgkmcnt(0)
	v_cmp_gt_i32_e32 vcc, s7, v1
	ds_write2_b32 v4, v5, v5 offset1:1
	ds_write2_b32 v4, v5, v5 offset0:2 offset1:3
	ds_write2_b32 v4, v5, v5 offset0:4 offset1:5
	;; [unrolled: 1-line block ×4, first 2 shown]
	ds_write_b32 v4, v5 offset:40
	s_waitcnt lgkmcnt(0)
	s_and_saveexec_b64 s[2:3], vcc
	s_cbranch_execz .LBB2_43
; %bb.1:
	s_load_dword s18, s[4:5], 0x20
	s_load_dwordx2 s[8:9], s[4:5], 0x8
	s_load_dwordx2 s[10:11], s[4:5], 0x18
	s_load_dword s20, s[4:5], 0x28
	s_mov_b64 s[4:5], 0
	s_waitcnt lgkmcnt(0)
	s_cmpk_lt_u32 s18, 0x4084
	s_cselect_b64 s[12:13], -1, 0
	s_cmpk_lt_u32 s18, 0x8084
	s_cselect_b64 s[14:15], -1, 0
	s_cmp_lt_u32 s18, 0x10084
	s_cselect_b64 s[16:17], -1, 0
	s_cmp_lt_u32 s18, 0x20084
	s_cselect_b64 s[18:19], -1, 0
	s_lshl_b32 s33, s20, 8
	v_mov_b32_e32 v6, s9
	s_movk_i32 s9, 0x100
	s_movk_i32 s42, 0x200
	s_movk_i32 s43, 0x400
	s_movk_i32 s44, 0x800
	s_movk_i32 s45, 0x1001
	s_xor_b64 s[12:13], s[12:13], -1
	v_mov_b32_e32 v7, 6
	s_movk_i32 s46, 0x2001
	s_xor_b64 s[14:15], s[14:15], -1
	v_mov_b32_e32 v8, 7
	s_movk_i32 s47, 0x4001
	s_xor_b64 s[16:17], s[16:17], -1
	v_mov_b32_e32 v9, 8
	s_mov_b32 s48, 0x8001
	s_xor_b64 s[18:19], s[18:19], -1
	v_mov_b32_e32 v10, 9
	v_mov_b32_e32 v11, 10
	;; [unrolled: 1-line block ×7, first 2 shown]
	s_branch .LBB2_3
.LBB2_2:                                ;   in Loop: Header=BB2_3 Depth=1
	s_or_b64 exec, exec, s[20:21]
	v_add_u32_e32 v1, s33, v1
	v_cmp_le_i32_e32 vcc, s7, v1
	s_or_b64 s[4:5], vcc, s[4:5]
	s_andn2_b64 exec, exec, s[4:5]
	s_cbranch_execz .LBB2_43
.LBB2_3:                                ; =>This Inner Loop Header: Depth=1
	v_ashrrev_i32_e32 v2, 31, v1
	v_lshlrev_b64 v[2:3], 2, v[1:2]
	v_add_co_u32_e32 v17, vcc, s8, v2
	v_addc_co_u32_e32 v18, vcc, v6, v3, vcc
	global_load_dwordx2 v[17:18], v[17:18], off
	s_waitcnt vmcnt(0)
	v_sub_u32_e32 v17, v18, v17
	v_cmp_lt_i32_e32 vcc, 16, v17
	s_and_saveexec_b64 s[20:21], vcc
	s_xor_b64 s[20:21], exec, s[20:21]
	s_cbranch_execz .LBB2_41
; %bb.4:                                ;   in Loop: Header=BB2_3 Depth=1
	v_cmp_lt_u32_e32 vcc, 32, v17
	s_and_saveexec_b64 s[22:23], vcc
	s_xor_b64 s[22:23], exec, s[22:23]
	s_cbranch_execz .LBB2_38
; %bb.5:                                ;   in Loop: Header=BB2_3 Depth=1
	v_cmp_lt_u32_e32 vcc, s9, v17
	;; [unrolled: 5-line block ×5, first 2 shown]
	s_and_saveexec_b64 s[30:31], vcc
	s_xor_b64 s[30:31], exec, s[30:31]
	s_cbranch_execz .LBB2_26
; %bb.9:                                ;   in Loop: Header=BB2_3 Depth=1
	v_cmp_gt_u32_e32 vcc, s45, v17
	s_and_b64 s[34:35], s[12:13], vcc
	s_and_saveexec_b64 s[36:37], s[34:35]
	s_xor_b64 s[34:35], exec, s[36:37]
	s_cbranch_execz .LBB2_11
; %bb.10:                               ;   in Loop: Header=BB2_3 Depth=1
	ds_read_b32 v17, v4 offset:24
	v_mov_b32_e32 v18, s11
	v_add_co_u32_e32 v2, vcc, s10, v2
	v_addc_co_u32_e32 v3, vcc, v18, v3, vcc
	s_waitcnt lgkmcnt(0)
	v_add_u32_e32 v17, 1, v17
	ds_write_b32 v4, v17 offset:24
	global_store_dword v[2:3], v7, off
                                        ; implicit-def: $vgpr17
                                        ; implicit-def: $vgpr2_vgpr3
.LBB2_11:                               ;   in Loop: Header=BB2_3 Depth=1
	s_andn2_saveexec_b64 s[34:35], s[34:35]
	s_cbranch_execz .LBB2_25
; %bb.12:                               ;   in Loop: Header=BB2_3 Depth=1
	v_cmp_gt_u32_e32 vcc, s46, v17
	s_and_b64 s[36:37], s[14:15], vcc
	s_and_saveexec_b64 s[38:39], s[36:37]
	s_xor_b64 s[36:37], exec, s[38:39]
	s_cbranch_execz .LBB2_14
; %bb.13:                               ;   in Loop: Header=BB2_3 Depth=1
	ds_read_b32 v17, v4 offset:28
	v_mov_b32_e32 v18, s11
	v_add_co_u32_e32 v2, vcc, s10, v2
	v_addc_co_u32_e32 v3, vcc, v18, v3, vcc
	s_waitcnt lgkmcnt(0)
	v_add_u32_e32 v17, 1, v17
	ds_write_b32 v4, v17 offset:28
	global_store_dword v[2:3], v8, off
                                        ; implicit-def: $vgpr17
                                        ; implicit-def: $vgpr2_vgpr3
.LBB2_14:                               ;   in Loop: Header=BB2_3 Depth=1
	s_andn2_saveexec_b64 s[36:37], s[36:37]
	s_cbranch_execz .LBB2_24
; %bb.15:                               ;   in Loop: Header=BB2_3 Depth=1
	;; [unrolled: 20-line block ×3, first 2 shown]
	v_cmp_gt_u32_e32 vcc, s48, v17
	s_and_b64 s[40:41], s[18:19], vcc
	v_mov_b32_e32 v17, s11
	v_add_co_u32_e32 v2, vcc, s10, v2
	v_addc_co_u32_e32 v3, vcc, v17, v3, vcc
	s_and_saveexec_b64 s[50:51], s[40:41]
	s_xor_b64 s[40:41], exec, s[50:51]
	s_cbranch_execz .LBB2_20
; %bb.19:                               ;   in Loop: Header=BB2_3 Depth=1
	ds_read_b32 v17, v4 offset:36
	global_store_dword v[2:3], v10, off
                                        ; implicit-def: $vgpr2_vgpr3
	s_waitcnt lgkmcnt(0)
	v_add_u32_e32 v17, 1, v17
	ds_write_b32 v4, v17 offset:36
.LBB2_20:                               ;   in Loop: Header=BB2_3 Depth=1
	s_andn2_saveexec_b64 s[40:41], s[40:41]
	s_cbranch_execz .LBB2_22
; %bb.21:                               ;   in Loop: Header=BB2_3 Depth=1
	ds_read_b32 v17, v4 offset:40
	global_store_dword v[2:3], v11, off
	s_waitcnt lgkmcnt(0)
	v_add_u32_e32 v17, 1, v17
	ds_write_b32 v4, v17 offset:40
.LBB2_22:                               ;   in Loop: Header=BB2_3 Depth=1
	s_or_b64 exec, exec, s[40:41]
.LBB2_23:                               ;   in Loop: Header=BB2_3 Depth=1
	s_or_b64 exec, exec, s[38:39]
.LBB2_24:                               ;   in Loop: Header=BB2_3 Depth=1
	s_or_b64 exec, exec, s[36:37]
.LBB2_25:                               ;   in Loop: Header=BB2_3 Depth=1
	s_or_b64 exec, exec, s[34:35]
                                        ; implicit-def: $vgpr2_vgpr3
.LBB2_26:                               ;   in Loop: Header=BB2_3 Depth=1
	s_andn2_saveexec_b64 s[30:31], s[30:31]
	s_cbranch_execz .LBB2_28
; %bb.27:                               ;   in Loop: Header=BB2_3 Depth=1
	ds_read_b32 v17, v4 offset:20
	v_mov_b32_e32 v18, s11
	v_add_co_u32_e32 v2, vcc, s10, v2
	v_addc_co_u32_e32 v3, vcc, v18, v3, vcc
	s_waitcnt lgkmcnt(0)
	v_add_u32_e32 v17, 1, v17
	ds_write_b32 v4, v17 offset:20
	global_store_dword v[2:3], v12, off
.LBB2_28:                               ;   in Loop: Header=BB2_3 Depth=1
	s_or_b64 exec, exec, s[30:31]
                                        ; implicit-def: $vgpr2_vgpr3
.LBB2_29:                               ;   in Loop: Header=BB2_3 Depth=1
	s_andn2_saveexec_b64 s[28:29], s[28:29]
	s_cbranch_execz .LBB2_31
; %bb.30:                               ;   in Loop: Header=BB2_3 Depth=1
	ds_read_b32 v17, v4 offset:16
	v_mov_b32_e32 v18, s11
	v_add_co_u32_e32 v2, vcc, s10, v2
	v_addc_co_u32_e32 v3, vcc, v18, v3, vcc
	s_waitcnt lgkmcnt(0)
	v_add_u32_e32 v17, 1, v17
	ds_write_b32 v4, v17 offset:16
	global_store_dword v[2:3], v13, off
.LBB2_31:                               ;   in Loop: Header=BB2_3 Depth=1
	s_or_b64 exec, exec, s[28:29]
                                        ; implicit-def: $vgpr2_vgpr3
.LBB2_32:                               ;   in Loop: Header=BB2_3 Depth=1
	s_andn2_saveexec_b64 s[26:27], s[26:27]
	s_cbranch_execz .LBB2_34
; %bb.33:                               ;   in Loop: Header=BB2_3 Depth=1
	ds_read_b32 v17, v4 offset:12
	v_mov_b32_e32 v18, s11
	v_add_co_u32_e32 v2, vcc, s10, v2
	v_addc_co_u32_e32 v3, vcc, v18, v3, vcc
	s_waitcnt lgkmcnt(0)
	v_add_u32_e32 v17, 1, v17
	ds_write_b32 v4, v17 offset:12
	global_store_dword v[2:3], v14, off
.LBB2_34:                               ;   in Loop: Header=BB2_3 Depth=1
	s_or_b64 exec, exec, s[26:27]
                                        ; implicit-def: $vgpr2_vgpr3
.LBB2_35:                               ;   in Loop: Header=BB2_3 Depth=1
	s_andn2_saveexec_b64 s[24:25], s[24:25]
	s_cbranch_execz .LBB2_37
; %bb.36:                               ;   in Loop: Header=BB2_3 Depth=1
	ds_read_b32 v17, v4 offset:8
	v_mov_b32_e32 v18, s11
	v_add_co_u32_e32 v2, vcc, s10, v2
	v_addc_co_u32_e32 v3, vcc, v18, v3, vcc
	s_waitcnt lgkmcnt(0)
	v_add_u32_e32 v17, 1, v17
	ds_write_b32 v4, v17 offset:8
	global_store_dword v[2:3], v15, off
.LBB2_37:                               ;   in Loop: Header=BB2_3 Depth=1
	s_or_b64 exec, exec, s[24:25]
                                        ; implicit-def: $vgpr2_vgpr3
.LBB2_38:                               ;   in Loop: Header=BB2_3 Depth=1
	s_andn2_saveexec_b64 s[22:23], s[22:23]
	s_cbranch_execz .LBB2_40
; %bb.39:                               ;   in Loop: Header=BB2_3 Depth=1
	ds_read_b32 v17, v4 offset:4
	v_mov_b32_e32 v18, s11
	v_add_co_u32_e32 v2, vcc, s10, v2
	v_addc_co_u32_e32 v3, vcc, v18, v3, vcc
	s_waitcnt lgkmcnt(0)
	v_add_u32_e32 v17, 1, v17
	ds_write_b32 v4, v17 offset:4
	global_store_dword v[2:3], v16, off
.LBB2_40:                               ;   in Loop: Header=BB2_3 Depth=1
	s_or_b64 exec, exec, s[22:23]
                                        ; implicit-def: $vgpr2_vgpr3
.LBB2_41:                               ;   in Loop: Header=BB2_3 Depth=1
	s_andn2_saveexec_b64 s[20:21], s[20:21]
	s_cbranch_execz .LBB2_2
; %bb.42:                               ;   in Loop: Header=BB2_3 Depth=1
	ds_read_b32 v17, v4
	v_mov_b32_e32 v18, s11
	v_add_co_u32_e32 v2, vcc, s10, v2
	v_addc_co_u32_e32 v3, vcc, v18, v3, vcc
	s_waitcnt lgkmcnt(0)
	v_add_u32_e32 v17, 1, v17
	ds_write_b32 v4, v17
	global_store_dword v[2:3], v5, off
	s_branch .LBB2_2
.LBB2_43:
	s_or_b64 exec, exec, s[2:3]
	s_movk_i32 s2, 0x80
	v_cmp_gt_u32_e32 vcc, s2, v0
	s_waitcnt vmcnt(0) lgkmcnt(0)
	s_barrier
	s_barrier
	;; [unrolled: 1-line block ×3, first 2 shown]
	s_and_saveexec_b64 s[2:3], vcc
	s_cbranch_execz .LBB2_45
; %bb.44:
	v_add_u32_e32 v1, 0x1600, v4
	ds_read2_b32 v[1:2], v1 offset1:1
	v_add_u32_e32 v15, 0x1610, v4
	v_add_u32_e32 v3, 0x1608, v4
	ds_read2_b32 v[5:6], v4 offset1:1
	ds_read2_b32 v[7:8], v4 offset0:2 offset1:3
	ds_read2_b32 v[9:10], v4 offset0:4 offset1:5
	;; [unrolled: 1-line block ×3, first 2 shown]
	ds_read2_b32 v[13:14], v3 offset1:1
	ds_read2_b32 v[15:16], v15 offset1:1
	ds_read2_b32 v[17:18], v4 offset0:8 offset1:9
	s_waitcnt lgkmcnt(6)
	v_add_u32_e32 v1, v5, v1
	v_add_u32_e32 v2, v6, v2
	ds_write2_b32 v4, v1, v2 offset1:1
	s_waitcnt lgkmcnt(3)
	v_add_u32_e32 v1, v7, v13
	v_add_u32_e32 v2, v8, v14
	ds_write2_b32 v4, v1, v2 offset0:2 offset1:3
	v_add_u32_e32 v1, 0x1618, v4
	ds_read2_b32 v[1:2], v1 offset1:1
	s_waitcnt lgkmcnt(4)
	v_add_u32_e32 v3, v9, v15
	v_add_u32_e32 v5, v10, v16
	ds_write2_b32 v4, v3, v5 offset0:4 offset1:5
	v_add_u32_e32 v3, 0x1620, v4
	ds_read2_b32 v[5:6], v3 offset1:1
	s_waitcnt lgkmcnt(2)
	v_add_u32_e32 v3, v11, v1
	v_add_u32_e32 v1, 40, v4
	;; [unrolled: 1-line block ×3, first 2 shown]
	ds_read2st64_b32 v[1:2], v1 offset1:22
	ds_write2_b32 v4, v3, v7 offset0:6 offset1:7
	s_waitcnt lgkmcnt(2)
	v_add_u32_e32 v3, v17, v5
	v_add_u32_e32 v5, v18, v6
	ds_write2_b32 v4, v3, v5 offset0:8 offset1:9
	s_waitcnt lgkmcnt(2)
	v_add_u32_e32 v1, v1, v2
	ds_write_b32 v4, v1 offset:40
.LBB2_45:
	s_or_b64 exec, exec, s[2:3]
	v_cmp_gt_u32_e32 vcc, 64, v0
	s_waitcnt lgkmcnt(0)
	s_barrier
	s_and_saveexec_b64 s[2:3], vcc
	s_cbranch_execz .LBB2_47
; %bb.46:
	v_add_u32_e32 v1, 0xb00, v4
	ds_read2_b32 v[1:2], v1 offset1:1
	v_add_u32_e32 v15, 0xb10, v4
	v_add_u32_e32 v3, 0xb08, v4
	ds_read2_b32 v[5:6], v4 offset1:1
	ds_read2_b32 v[7:8], v4 offset0:2 offset1:3
	ds_read2_b32 v[9:10], v4 offset0:4 offset1:5
	;; [unrolled: 1-line block ×3, first 2 shown]
	ds_read2_b32 v[13:14], v3 offset1:1
	ds_read2_b32 v[15:16], v15 offset1:1
	ds_read2_b32 v[17:18], v4 offset0:8 offset1:9
	s_waitcnt lgkmcnt(6)
	v_add_u32_e32 v1, v5, v1
	v_add_u32_e32 v2, v6, v2
	ds_write2_b32 v4, v1, v2 offset1:1
	s_waitcnt lgkmcnt(3)
	v_add_u32_e32 v1, v7, v13
	v_add_u32_e32 v2, v8, v14
	ds_write2_b32 v4, v1, v2 offset0:2 offset1:3
	v_add_u32_e32 v1, 0xb18, v4
	ds_read2_b32 v[1:2], v1 offset1:1
	s_waitcnt lgkmcnt(4)
	v_add_u32_e32 v3, v9, v15
	v_add_u32_e32 v5, v10, v16
	ds_write2_b32 v4, v3, v5 offset0:4 offset1:5
	v_add_u32_e32 v3, 0xb20, v4
	ds_read2_b32 v[5:6], v3 offset1:1
	s_waitcnt lgkmcnt(2)
	v_add_u32_e32 v3, v11, v1
	v_add_u32_e32 v1, 40, v4
	;; [unrolled: 1-line block ×3, first 2 shown]
	ds_read2st64_b32 v[1:2], v1 offset1:11
	ds_write2_b32 v4, v3, v7 offset0:6 offset1:7
	s_waitcnt lgkmcnt(2)
	v_add_u32_e32 v3, v17, v5
	v_add_u32_e32 v5, v18, v6
	ds_write2_b32 v4, v3, v5 offset0:8 offset1:9
	s_waitcnt lgkmcnt(2)
	v_add_u32_e32 v1, v1, v2
	ds_write_b32 v4, v1 offset:40
.LBB2_47:
	s_or_b64 exec, exec, s[2:3]
	v_cmp_gt_u32_e32 vcc, 32, v0
	s_waitcnt lgkmcnt(0)
	s_barrier
	s_and_saveexec_b64 s[2:3], vcc
	s_cbranch_execz .LBB2_49
; %bb.48:
	v_add_u32_e32 v1, 0x580, v4
	ds_read2_b32 v[1:2], v1 offset1:1
	ds_read2_b32 v[5:6], v4 offset1:1
	ds_read2_b32 v[7:8], v4 offset0:2 offset1:3
	ds_read2_b32 v[9:10], v4 offset0:4 offset1:5
	;; [unrolled: 1-line block ×3, first 2 shown]
	ds_read_b32 v3, v4 offset:1448
	s_waitcnt lgkmcnt(4)
	v_add_u32_e32 v1, v5, v1
	v_add_u32_e32 v2, v6, v2
	ds_write2_b32 v4, v1, v2 offset1:1
	v_add_u32_e32 v1, 0x588, v4
	ds_read2_b32 v[1:2], v1 offset1:1
	v_add_u32_e32 v5, 0x590, v4
	v_add_u32_e32 v13, 0x598, v4
	;; [unrolled: 1-line block ×3, first 2 shown]
	ds_read2_b32 v[5:6], v5 offset1:1
	ds_read2_b32 v[13:14], v13 offset1:1
	;; [unrolled: 1-line block ×3, first 2 shown]
	s_waitcnt lgkmcnt(3)
	v_add_u32_e32 v1, v7, v1
	v_add_u32_e32 v2, v8, v2
	ds_write2_b32 v4, v1, v2 offset0:2 offset1:3
	s_waitcnt lgkmcnt(3)
	v_add_u32_e32 v1, v9, v5
	v_add_u32_e32 v2, v10, v6
	ds_write2_b32 v4, v1, v2 offset0:4 offset1:5
	ds_read2_b32 v[1:2], v4 offset0:8 offset1:9
	ds_read_b32 v7, v4 offset:40
	s_waitcnt lgkmcnt(5)
	v_add_u32_e32 v5, v11, v13
	v_add_u32_e32 v6, v12, v14
	ds_write2_b32 v4, v5, v6 offset0:6 offset1:7
	s_waitcnt lgkmcnt(2)
	v_add_u32_e32 v1, v1, v15
	v_add_u32_e32 v2, v2, v16
	ds_write2_b32 v4, v1, v2 offset0:8 offset1:9
	s_waitcnt lgkmcnt(2)
	v_add_u32_e32 v1, v7, v3
	ds_write_b32 v4, v1 offset:40
.LBB2_49:
	s_or_b64 exec, exec, s[2:3]
	v_cmp_gt_u32_e32 vcc, 16, v0
	s_waitcnt lgkmcnt(0)
	s_barrier
	s_and_saveexec_b64 s[2:3], vcc
	s_cbranch_execz .LBB2_51
; %bb.50:
	ds_read2_b32 v[1:2], v4 offset0:176 offset1:177
	ds_read2_b32 v[5:6], v4 offset1:1
	ds_read2_b32 v[7:8], v4 offset0:2 offset1:3
	ds_read2_b32 v[9:10], v4 offset0:4 offset1:5
	ds_read2_b32 v[11:12], v4 offset0:6 offset1:7
	ds_read2_b32 v[13:14], v4 offset0:178 offset1:179
	ds_read2_b32 v[15:16], v4 offset0:180 offset1:181
	ds_read2_b32 v[17:18], v4 offset0:8 offset1:9
	s_waitcnt lgkmcnt(6)
	v_add_u32_e32 v1, v5, v1
	v_add_u32_e32 v2, v6, v2
	ds_write2_b32 v4, v1, v2 offset1:1
	s_waitcnt lgkmcnt(3)
	v_add_u32_e32 v1, v7, v13
	v_add_u32_e32 v2, v8, v14
	ds_write2_b32 v4, v1, v2 offset0:2 offset1:3
	ds_read2_b32 v[1:2], v4 offset0:182 offset1:183
	s_waitcnt lgkmcnt(4)
	v_add_u32_e32 v3, v9, v15
	v_add_u32_e32 v5, v10, v16
	ds_write2_b32 v4, v3, v5 offset0:4 offset1:5
	ds_read2_b32 v[5:6], v4 offset0:184 offset1:185
	s_waitcnt lgkmcnt(2)
	v_add_u32_e32 v3, v11, v1
	v_add_u32_e32 v7, v12, v2
	ds_read2_b32 v[1:2], v4 offset0:10 offset1:186
	ds_write2_b32 v4, v3, v7 offset0:6 offset1:7
	s_waitcnt lgkmcnt(2)
	v_add_u32_e32 v3, v17, v5
	v_add_u32_e32 v5, v18, v6
	ds_write2_b32 v4, v3, v5 offset0:8 offset1:9
	s_waitcnt lgkmcnt(2)
	v_add_u32_e32 v1, v1, v2
	ds_write_b32 v4, v1 offset:40
.LBB2_51:
	s_or_b64 exec, exec, s[2:3]
	v_cmp_gt_u32_e32 vcc, 8, v0
	s_waitcnt lgkmcnt(0)
	s_barrier
	s_and_saveexec_b64 s[2:3], vcc
	s_cbranch_execz .LBB2_53
; %bb.52:
	ds_read2_b32 v[1:2], v4 offset0:88 offset1:89
	ds_read2_b32 v[5:6], v4 offset1:1
	ds_read2_b32 v[7:8], v4 offset0:2 offset1:3
	ds_read2_b32 v[9:10], v4 offset0:4 offset1:5
	ds_read2_b32 v[11:12], v4 offset0:6 offset1:7
	ds_read2_b32 v[13:14], v4 offset0:90 offset1:91
	ds_read2_b32 v[15:16], v4 offset0:92 offset1:93
	ds_read2_b32 v[17:18], v4 offset0:8 offset1:9
	s_waitcnt lgkmcnt(6)
	v_add_u32_e32 v1, v5, v1
	v_add_u32_e32 v2, v6, v2
	ds_write2_b32 v4, v1, v2 offset1:1
	s_waitcnt lgkmcnt(3)
	v_add_u32_e32 v1, v7, v13
	v_add_u32_e32 v2, v8, v14
	ds_write2_b32 v4, v1, v2 offset0:2 offset1:3
	ds_read2_b32 v[1:2], v4 offset0:94 offset1:95
	s_waitcnt lgkmcnt(4)
	v_add_u32_e32 v3, v9, v15
	v_add_u32_e32 v5, v10, v16
	ds_write2_b32 v4, v3, v5 offset0:4 offset1:5
	ds_read2_b32 v[5:6], v4 offset0:96 offset1:97
	s_waitcnt lgkmcnt(2)
	v_add_u32_e32 v3, v11, v1
	v_add_u32_e32 v7, v12, v2
	ds_read2_b32 v[1:2], v4 offset0:10 offset1:98
	ds_write2_b32 v4, v3, v7 offset0:6 offset1:7
	s_waitcnt lgkmcnt(2)
	v_add_u32_e32 v3, v17, v5
	v_add_u32_e32 v5, v18, v6
	ds_write2_b32 v4, v3, v5 offset0:8 offset1:9
	s_waitcnt lgkmcnt(2)
	v_add_u32_e32 v1, v1, v2
	ds_write_b32 v4, v1 offset:40
.LBB2_53:
	;; [unrolled: 42-line block ×4, first 2 shown]
	s_or_b64 exec, exec, s[2:3]
	v_cmp_eq_u32_e32 vcc, 0, v0
	s_waitcnt lgkmcnt(0)
	s_barrier
	s_and_saveexec_b64 s[2:3], vcc
	s_cbranch_execz .LBB2_59
; %bb.58:
	v_mov_b32_e32 v21, 0
	ds_read_b128 v[1:4], v21
	ds_read_b128 v[5:8], v21 offset:32
	ds_read_b128 v[9:12], v21 offset:48
	;; [unrolled: 1-line block ×4, first 2 shown]
	s_waitcnt lgkmcnt(3)
	v_add_u32_e32 v1, v1, v8
	s_waitcnt lgkmcnt(2)
	v_add_u32_e32 v2, v2, v9
	ds_read_b64 v[8:9], v21 offset:80
	v_add_u32_e32 v3, v3, v10
	v_add_u32_e32 v4, v4, v11
	ds_write_b128 v21, v[1:4]
	s_waitcnt lgkmcnt(3)
	v_add_u32_e32 v1, v13, v12
	s_waitcnt lgkmcnt(2)
	v_add_u32_e32 v2, v14, v17
	v_add_u32_e32 v3, v15, v18
	;; [unrolled: 1-line block ×3, first 2 shown]
	ds_write_b128 v21, v[1:4] offset:16
	v_add_u32_e32 v1, v5, v20
	s_waitcnt lgkmcnt(2)
	v_add_u32_e32 v2, v6, v8
	v_add_u32_e32 v3, v7, v9
	ds_write_b96 v21, v[1:3] offset:32
.LBB2_59:
	s_or_b64 exec, exec, s[2:3]
	v_cmp_gt_u32_e32 vcc, 11, v0
	s_waitcnt lgkmcnt(0)
	s_barrier
	s_and_saveexec_b64 s[2:3], vcc
	s_cbranch_execz .LBB2_61
; %bb.60:
	v_mad_u64_u32 v[1:2], s[2:3], s6, 11, v[0:1]
	v_lshlrev_b32_e32 v0, 2, v0
	v_mov_b32_e32 v2, 0
	ds_read_b32 v4, v0
	v_lshlrev_b64 v[1:2], 2, v[1:2]
	v_mov_b32_e32 v3, s1
	v_add_co_u32_e32 v0, vcc, s0, v1
	v_addc_co_u32_e32 v1, vcc, v3, v2, vcc
	s_waitcnt lgkmcnt(0)
	global_store_dword v[0:1], v4, off
.LBB2_61:
	s_endpgm
	.section	.rodata,"a",@progbits
	.p2align	6, 0x0
	.amdhsa_kernel _ZN9rocsparseL35csrgemm_symbolic_group_reduce_part2ILj256ELj11EiiEEvT2_PKT1_PS1_Pij
		.amdhsa_group_segment_fixed_size 11264
		.amdhsa_private_segment_fixed_size 0
		.amdhsa_kernarg_size 296
		.amdhsa_user_sgpr_count 6
		.amdhsa_user_sgpr_private_segment_buffer 1
		.amdhsa_user_sgpr_dispatch_ptr 0
		.amdhsa_user_sgpr_queue_ptr 0
		.amdhsa_user_sgpr_kernarg_segment_ptr 1
		.amdhsa_user_sgpr_dispatch_id 0
		.amdhsa_user_sgpr_flat_scratch_init 0
		.amdhsa_user_sgpr_private_segment_size 0
		.amdhsa_uses_dynamic_stack 0
		.amdhsa_system_sgpr_private_segment_wavefront_offset 0
		.amdhsa_system_sgpr_workgroup_id_x 1
		.amdhsa_system_sgpr_workgroup_id_y 0
		.amdhsa_system_sgpr_workgroup_id_z 0
		.amdhsa_system_sgpr_workgroup_info 0
		.amdhsa_system_vgpr_workitem_id 0
		.amdhsa_next_free_vgpr 41
		.amdhsa_next_free_sgpr 98
		.amdhsa_reserve_vcc 1
		.amdhsa_reserve_flat_scratch 0
		.amdhsa_float_round_mode_32 0
		.amdhsa_float_round_mode_16_64 0
		.amdhsa_float_denorm_mode_32 3
		.amdhsa_float_denorm_mode_16_64 3
		.amdhsa_dx10_clamp 1
		.amdhsa_ieee_mode 1
		.amdhsa_fp16_overflow 0
		.amdhsa_exception_fp_ieee_invalid_op 0
		.amdhsa_exception_fp_denorm_src 0
		.amdhsa_exception_fp_ieee_div_zero 0
		.amdhsa_exception_fp_ieee_overflow 0
		.amdhsa_exception_fp_ieee_underflow 0
		.amdhsa_exception_fp_ieee_inexact 0
		.amdhsa_exception_int_div_zero 0
	.end_amdhsa_kernel
	.section	.text._ZN9rocsparseL35csrgemm_symbolic_group_reduce_part2ILj256ELj11EiiEEvT2_PKT1_PS1_Pij,"axG",@progbits,_ZN9rocsparseL35csrgemm_symbolic_group_reduce_part2ILj256ELj11EiiEEvT2_PKT1_PS1_Pij,comdat
.Lfunc_end2:
	.size	_ZN9rocsparseL35csrgemm_symbolic_group_reduce_part2ILj256ELj11EiiEEvT2_PKT1_PS1_Pij, .Lfunc_end2-_ZN9rocsparseL35csrgemm_symbolic_group_reduce_part2ILj256ELj11EiiEEvT2_PKT1_PS1_Pij
                                        ; -- End function
	.set _ZN9rocsparseL35csrgemm_symbolic_group_reduce_part2ILj256ELj11EiiEEvT2_PKT1_PS1_Pij.num_vgpr, 22
	.set _ZN9rocsparseL35csrgemm_symbolic_group_reduce_part2ILj256ELj11EiiEEvT2_PKT1_PS1_Pij.num_agpr, 0
	.set _ZN9rocsparseL35csrgemm_symbolic_group_reduce_part2ILj256ELj11EiiEEvT2_PKT1_PS1_Pij.numbered_sgpr, 52
	.set _ZN9rocsparseL35csrgemm_symbolic_group_reduce_part2ILj256ELj11EiiEEvT2_PKT1_PS1_Pij.num_named_barrier, 0
	.set _ZN9rocsparseL35csrgemm_symbolic_group_reduce_part2ILj256ELj11EiiEEvT2_PKT1_PS1_Pij.private_seg_size, 0
	.set _ZN9rocsparseL35csrgemm_symbolic_group_reduce_part2ILj256ELj11EiiEEvT2_PKT1_PS1_Pij.uses_vcc, 1
	.set _ZN9rocsparseL35csrgemm_symbolic_group_reduce_part2ILj256ELj11EiiEEvT2_PKT1_PS1_Pij.uses_flat_scratch, 0
	.set _ZN9rocsparseL35csrgemm_symbolic_group_reduce_part2ILj256ELj11EiiEEvT2_PKT1_PS1_Pij.has_dyn_sized_stack, 0
	.set _ZN9rocsparseL35csrgemm_symbolic_group_reduce_part2ILj256ELj11EiiEEvT2_PKT1_PS1_Pij.has_recursion, 0
	.set _ZN9rocsparseL35csrgemm_symbolic_group_reduce_part2ILj256ELj11EiiEEvT2_PKT1_PS1_Pij.has_indirect_call, 0
	.section	.AMDGPU.csdata,"",@progbits
; Kernel info:
; codeLenInByte = 3104
; TotalNumSgprs: 56
; NumVgprs: 22
; ScratchSize: 0
; MemoryBound: 0
; FloatMode: 240
; IeeeMode: 1
; LDSByteSize: 11264 bytes/workgroup (compile time only)
; SGPRBlocks: 12
; VGPRBlocks: 10
; NumSGPRsForWavesPerEU: 102
; NumVGPRsForWavesPerEU: 41
; Occupancy: 5
; WaveLimiterHint : 0
; COMPUTE_PGM_RSRC2:SCRATCH_EN: 0
; COMPUTE_PGM_RSRC2:USER_SGPR: 6
; COMPUTE_PGM_RSRC2:TRAP_HANDLER: 0
; COMPUTE_PGM_RSRC2:TGID_X_EN: 1
; COMPUTE_PGM_RSRC2:TGID_Y_EN: 0
; COMPUTE_PGM_RSRC2:TGID_Z_EN: 0
; COMPUTE_PGM_RSRC2:TIDIG_COMP_CNT: 0
	.section	.text._ZN9rocsparseL35csrgemm_symbolic_group_reduce_part3ILj256ELj11EiEEvPT1_,"axG",@progbits,_ZN9rocsparseL35csrgemm_symbolic_group_reduce_part3ILj256ELj11EiEEvPT1_,comdat
	.globl	_ZN9rocsparseL35csrgemm_symbolic_group_reduce_part3ILj256ELj11EiEEvPT1_ ; -- Begin function _ZN9rocsparseL35csrgemm_symbolic_group_reduce_part3ILj256ELj11EiEEvPT1_
	.p2align	8
	.type	_ZN9rocsparseL35csrgemm_symbolic_group_reduce_part3ILj256ELj11EiEEvPT1_,@function
_ZN9rocsparseL35csrgemm_symbolic_group_reduce_part3ILj256ELj11EiEEvPT1_: ; @_ZN9rocsparseL35csrgemm_symbolic_group_reduce_part3ILj256ELj11EiEEvPT1_
; %bb.0:
	s_load_dwordx2 s[0:1], s[4:5], 0x0
	v_lshlrev_b32_e32 v4, 2, v0
	v_or_b32_e32 v3, 0xffffff00, v0
	s_mov_b64 s[2:3], 0
	s_movk_i32 s4, 0x9ff
	s_waitcnt lgkmcnt(0)
	v_mov_b32_e32 v2, s1
	v_add_co_u32_e32 v1, vcc, s0, v4
	v_addc_co_u32_e32 v2, vcc, 0, v2, vcc
.LBB3_1:                                ; =>This Inner Loop Header: Depth=1
	global_load_dword v5, v[1:2], off
	v_add_co_u32_e32 v1, vcc, 0x400, v1
	v_add_u32_e32 v3, 0x100, v3
	v_addc_co_u32_e32 v2, vcc, 0, v2, vcc
	v_cmp_lt_u32_e32 vcc, s4, v3
	s_or_b64 s[2:3], vcc, s[2:3]
	s_waitcnt vmcnt(0)
	ds_write_b32 v4, v5
	v_add_u32_e32 v4, 0x400, v4
	s_andn2_b64 exec, exec, s[2:3]
	s_cbranch_execnz .LBB3_1
; %bb.2:
	s_or_b64 exec, exec, s[2:3]
	s_movk_i32 s2, 0x80
	v_cmp_gt_u32_e32 vcc, s2, v0
	v_mul_u32_u24_e32 v1, 44, v0
	s_waitcnt lgkmcnt(0)
	s_barrier
	s_barrier
	;; [unrolled: 1-line block ×3, first 2 shown]
	s_and_saveexec_b64 s[2:3], vcc
	s_cbranch_execz .LBB3_4
; %bb.3:
	v_mov_b32_e32 v2, 0x1600
	v_mov_b32_e32 v5, 0x1608
	v_mad_u32_u24 v4, v0, 44, v2
	ds_read2_b32 v[2:3], v1 offset1:1
	v_mad_u32_u24 v6, v0, 44, v5
	v_mov_b32_e32 v5, 0x1610
	v_mad_u32_u24 v8, v0, 44, v5
	v_mov_b32_e32 v5, 0x1618
	v_mov_b32_e32 v12, 0x1620
	v_mad_u32_u24 v10, v0, 44, v5
	v_mad_u32_u24 v16, v0, 44, v12
	ds_read2_b32 v[4:5], v4 offset1:1
	ds_read2_b32 v[6:7], v6 offset1:1
	;; [unrolled: 1-line block ×4, first 2 shown]
	ds_read2_b32 v[12:13], v1 offset0:2 offset1:3
	ds_read2_b32 v[14:15], v1 offset0:4 offset1:5
	ds_read2_b32 v[16:17], v16 offset1:1
	s_waitcnt lgkmcnt(6)
	v_add_u32_e32 v2, v2, v4
	v_add_u32_e32 v3, v3, v5
	ds_write2_b32 v1, v2, v3 offset1:1
	s_waitcnt lgkmcnt(3)
	v_add_u32_e32 v2, v12, v6
	v_add_u32_e32 v3, v13, v7
	ds_write2_b32 v1, v2, v3 offset0:2 offset1:3
	ds_read2_b32 v[2:3], v1 offset0:6 offset1:7
	s_waitcnt lgkmcnt(4)
	v_add_u32_e32 v4, v14, v8
	v_add_u32_e32 v5, v15, v9
	ds_write2_b32 v1, v4, v5 offset0:4 offset1:5
	ds_read2_b32 v[4:5], v1 offset0:8 offset1:9
	s_waitcnt lgkmcnt(2)
	v_add_u32_e32 v6, v2, v10
	v_add_u32_e32 v2, 40, v1
	v_add_u32_e32 v7, v3, v11
	ds_read2st64_b32 v[2:3], v2 offset1:22
	s_waitcnt lgkmcnt(1)
	v_add_u32_e32 v4, v4, v16
	v_add_u32_e32 v5, v5, v17
	ds_write2_b32 v1, v6, v7 offset0:6 offset1:7
	ds_write2_b32 v1, v4, v5 offset0:8 offset1:9
	s_waitcnt lgkmcnt(2)
	v_add_u32_e32 v2, v2, v3
	ds_write_b32 v1, v2 offset:40
.LBB3_4:
	s_or_b64 exec, exec, s[2:3]
	v_cmp_gt_u32_e32 vcc, 64, v0
	s_waitcnt lgkmcnt(0)
	s_barrier
	s_and_saveexec_b64 s[2:3], vcc
	s_cbranch_execz .LBB3_6
; %bb.5:
	v_mov_b32_e32 v2, 0xb00
	v_mov_b32_e32 v5, 0xb08
	v_mad_u32_u24 v4, v0, 44, v2
	ds_read2_b32 v[2:3], v1 offset1:1
	v_mad_u32_u24 v6, v0, 44, v5
	v_mov_b32_e32 v5, 0xb10
	v_mad_u32_u24 v8, v0, 44, v5
	v_mov_b32_e32 v5, 0xb18
	v_mov_b32_e32 v12, 0xb20
	v_mad_u32_u24 v10, v0, 44, v5
	v_mad_u32_u24 v16, v0, 44, v12
	ds_read2_b32 v[4:5], v4 offset1:1
	ds_read2_b32 v[6:7], v6 offset1:1
	;; [unrolled: 1-line block ×4, first 2 shown]
	ds_read2_b32 v[12:13], v1 offset0:2 offset1:3
	ds_read2_b32 v[14:15], v1 offset0:4 offset1:5
	ds_read2_b32 v[16:17], v16 offset1:1
	s_waitcnt lgkmcnt(6)
	v_add_u32_e32 v2, v2, v4
	v_add_u32_e32 v3, v3, v5
	ds_write2_b32 v1, v2, v3 offset1:1
	s_waitcnt lgkmcnt(3)
	v_add_u32_e32 v2, v12, v6
	v_add_u32_e32 v3, v13, v7
	ds_write2_b32 v1, v2, v3 offset0:2 offset1:3
	ds_read2_b32 v[2:3], v1 offset0:6 offset1:7
	s_waitcnt lgkmcnt(4)
	v_add_u32_e32 v4, v14, v8
	v_add_u32_e32 v5, v15, v9
	ds_write2_b32 v1, v4, v5 offset0:4 offset1:5
	ds_read2_b32 v[4:5], v1 offset0:8 offset1:9
	s_waitcnt lgkmcnt(2)
	v_add_u32_e32 v6, v2, v10
	v_add_u32_e32 v2, 40, v1
	;; [unrolled: 1-line block ×3, first 2 shown]
	ds_read2st64_b32 v[2:3], v2 offset1:11
	s_waitcnt lgkmcnt(1)
	v_add_u32_e32 v4, v4, v16
	v_add_u32_e32 v5, v5, v17
	ds_write2_b32 v1, v6, v7 offset0:6 offset1:7
	ds_write2_b32 v1, v4, v5 offset0:8 offset1:9
	s_waitcnt lgkmcnt(2)
	v_add_u32_e32 v2, v2, v3
	ds_write_b32 v1, v2 offset:40
.LBB3_6:
	s_or_b64 exec, exec, s[2:3]
	v_cmp_gt_u32_e32 vcc, 32, v0
	s_waitcnt lgkmcnt(0)
	s_barrier
	s_and_saveexec_b64 s[2:3], vcc
	s_cbranch_execz .LBB3_8
; %bb.7:
	v_mov_b32_e32 v2, 0x580
	v_mov_b32_e32 v5, 0x588
	v_mad_u32_u24 v4, v0, 44, v2
	ds_read2_b32 v[2:3], v1 offset1:1
	v_mad_u32_u24 v6, v0, 44, v5
	v_mov_b32_e32 v5, 0x590
	v_mad_u32_u24 v8, v0, 44, v5
	v_mov_b32_e32 v5, 0x598
	v_mov_b32_e32 v12, 0x5a0
	v_mad_u32_u24 v10, v0, 44, v5
	v_mad_u32_u24 v16, v0, 44, v12
	ds_read2_b32 v[4:5], v4 offset1:1
	ds_read2_b32 v[6:7], v6 offset1:1
	;; [unrolled: 1-line block ×4, first 2 shown]
	ds_read2_b32 v[12:13], v1 offset0:2 offset1:3
	ds_read2_b32 v[14:15], v1 offset0:4 offset1:5
	ds_read2_b32 v[16:17], v16 offset1:1
	s_waitcnt lgkmcnt(6)
	v_add_u32_e32 v2, v2, v4
	v_add_u32_e32 v3, v3, v5
	ds_write2_b32 v1, v2, v3 offset1:1
	s_waitcnt lgkmcnt(3)
	v_add_u32_e32 v2, v12, v6
	v_add_u32_e32 v3, v13, v7
	ds_write2_b32 v1, v2, v3 offset0:2 offset1:3
	s_waitcnt lgkmcnt(3)
	v_add_u32_e32 v4, v14, v8
	v_add_u32_e32 v5, v15, v9
	ds_read2_b32 v[2:3], v1 offset0:6 offset1:7
	ds_write2_b32 v1, v4, v5 offset0:4 offset1:5
	ds_read2_b32 v[4:5], v1 offset0:8 offset1:9
	ds_read_b32 v6, v1 offset:1448
	ds_read_b32 v7, v1 offset:40
	s_waitcnt lgkmcnt(4)
	v_add_u32_e32 v2, v2, v10
	v_add_u32_e32 v3, v3, v11
	ds_write2_b32 v1, v2, v3 offset0:6 offset1:7
	s_waitcnt lgkmcnt(3)
	v_add_u32_e32 v2, v4, v16
	v_add_u32_e32 v3, v5, v17
	ds_write2_b32 v1, v2, v3 offset0:8 offset1:9
	s_waitcnt lgkmcnt(2)
	v_add_u32_e32 v2, v7, v6
	ds_write_b32 v1, v2 offset:40
.LBB3_8:
	s_or_b64 exec, exec, s[2:3]
	v_cmp_gt_u32_e32 vcc, 16, v0
	s_waitcnt lgkmcnt(0)
	s_barrier
	s_and_saveexec_b64 s[2:3], vcc
	s_cbranch_execz .LBB3_10
; %bb.9:
	ds_read2_b32 v[2:3], v1 offset0:176 offset1:177
	ds_read2_b32 v[4:5], v1 offset1:1
	ds_read2_b32 v[6:7], v1 offset0:2 offset1:3
	ds_read2_b32 v[8:9], v1 offset0:4 offset1:5
	ds_read2_b32 v[10:11], v1 offset0:6 offset1:7
	ds_read2_b32 v[12:13], v1 offset0:178 offset1:179
	ds_read2_b32 v[14:15], v1 offset0:180 offset1:181
	ds_read2_b32 v[16:17], v1 offset0:8 offset1:9
	s_waitcnt lgkmcnt(6)
	v_add_u32_e32 v2, v4, v2
	v_add_u32_e32 v3, v5, v3
	ds_write2_b32 v1, v2, v3 offset1:1
	s_waitcnt lgkmcnt(3)
	v_add_u32_e32 v2, v6, v12
	v_add_u32_e32 v3, v7, v13
	ds_write2_b32 v1, v2, v3 offset0:2 offset1:3
	ds_read2_b32 v[2:3], v1 offset0:182 offset1:183
	s_waitcnt lgkmcnt(4)
	v_add_u32_e32 v4, v8, v14
	v_add_u32_e32 v5, v9, v15
	ds_write2_b32 v1, v4, v5 offset0:4 offset1:5
	ds_read2_b32 v[4:5], v1 offset0:184 offset1:185
	s_waitcnt lgkmcnt(2)
	v_add_u32_e32 v6, v10, v2
	v_add_u32_e32 v7, v11, v3
	ds_read2_b32 v[2:3], v1 offset0:10 offset1:186
	ds_write2_b32 v1, v6, v7 offset0:6 offset1:7
	s_waitcnt lgkmcnt(2)
	v_add_u32_e32 v4, v16, v4
	v_add_u32_e32 v5, v17, v5
	ds_write2_b32 v1, v4, v5 offset0:8 offset1:9
	s_waitcnt lgkmcnt(2)
	v_add_u32_e32 v2, v2, v3
	ds_write_b32 v1, v2 offset:40
.LBB3_10:
	s_or_b64 exec, exec, s[2:3]
	v_cmp_gt_u32_e32 vcc, 8, v0
	s_waitcnt lgkmcnt(0)
	s_barrier
	s_and_saveexec_b64 s[2:3], vcc
	s_cbranch_execz .LBB3_12
; %bb.11:
	ds_read2_b32 v[2:3], v1 offset0:88 offset1:89
	ds_read2_b32 v[4:5], v1 offset1:1
	ds_read2_b32 v[6:7], v1 offset0:2 offset1:3
	ds_read2_b32 v[8:9], v1 offset0:4 offset1:5
	ds_read2_b32 v[10:11], v1 offset0:6 offset1:7
	ds_read2_b32 v[12:13], v1 offset0:90 offset1:91
	ds_read2_b32 v[14:15], v1 offset0:92 offset1:93
	ds_read2_b32 v[16:17], v1 offset0:8 offset1:9
	s_waitcnt lgkmcnt(6)
	v_add_u32_e32 v2, v4, v2
	v_add_u32_e32 v3, v5, v3
	ds_write2_b32 v1, v2, v3 offset1:1
	s_waitcnt lgkmcnt(3)
	v_add_u32_e32 v2, v6, v12
	v_add_u32_e32 v3, v7, v13
	ds_write2_b32 v1, v2, v3 offset0:2 offset1:3
	ds_read2_b32 v[2:3], v1 offset0:94 offset1:95
	s_waitcnt lgkmcnt(4)
	v_add_u32_e32 v4, v8, v14
	v_add_u32_e32 v5, v9, v15
	ds_write2_b32 v1, v4, v5 offset0:4 offset1:5
	ds_read2_b32 v[4:5], v1 offset0:96 offset1:97
	s_waitcnt lgkmcnt(2)
	v_add_u32_e32 v6, v10, v2
	v_add_u32_e32 v7, v11, v3
	ds_read2_b32 v[2:3], v1 offset0:10 offset1:98
	ds_write2_b32 v1, v6, v7 offset0:6 offset1:7
	s_waitcnt lgkmcnt(2)
	v_add_u32_e32 v4, v16, v4
	v_add_u32_e32 v5, v17, v5
	ds_write2_b32 v1, v4, v5 offset0:8 offset1:9
	s_waitcnt lgkmcnt(2)
	v_add_u32_e32 v2, v2, v3
	ds_write_b32 v1, v2 offset:40
.LBB3_12:
	;; [unrolled: 42-line block ×4, first 2 shown]
	s_or_b64 exec, exec, s[2:3]
	v_cmp_eq_u32_e32 vcc, 0, v0
	s_waitcnt lgkmcnt(0)
	s_barrier
	s_and_saveexec_b64 s[2:3], vcc
	s_cbranch_execz .LBB3_18
; %bb.17:
	v_mov_b32_e32 v21, 0
	ds_read_b128 v[1:4], v21
	ds_read_b128 v[5:8], v21 offset:32
	ds_read_b128 v[9:12], v21 offset:48
	;; [unrolled: 1-line block ×4, first 2 shown]
	s_waitcnt lgkmcnt(3)
	v_add_u32_e32 v1, v1, v8
	s_waitcnt lgkmcnt(2)
	v_add_u32_e32 v2, v2, v9
	ds_read_b64 v[8:9], v21 offset:80
	v_add_u32_e32 v3, v3, v10
	v_add_u32_e32 v4, v4, v11
	ds_write_b128 v21, v[1:4]
	s_waitcnt lgkmcnt(3)
	v_add_u32_e32 v1, v13, v12
	s_waitcnt lgkmcnt(2)
	v_add_u32_e32 v2, v14, v17
	v_add_u32_e32 v3, v15, v18
	;; [unrolled: 1-line block ×3, first 2 shown]
	ds_write_b128 v21, v[1:4] offset:16
	v_add_u32_e32 v1, v5, v20
	s_waitcnt lgkmcnt(2)
	v_add_u32_e32 v2, v6, v8
	v_add_u32_e32 v3, v7, v9
	ds_write_b96 v21, v[1:3] offset:32
.LBB3_18:
	s_or_b64 exec, exec, s[2:3]
	v_cmp_gt_u32_e32 vcc, 11, v0
	s_waitcnt lgkmcnt(0)
	s_barrier
	s_and_saveexec_b64 s[2:3], vcc
	s_cbranch_execz .LBB3_20
; %bb.19:
	v_lshlrev_b32_e32 v0, 2, v0
	ds_read_b32 v1, v0
	s_waitcnt lgkmcnt(0)
	global_store_dword v0, v1, s[0:1]
.LBB3_20:
	s_endpgm
	.section	.rodata,"a",@progbits
	.p2align	6, 0x0
	.amdhsa_kernel _ZN9rocsparseL35csrgemm_symbolic_group_reduce_part3ILj256ELj11EiEEvPT1_
		.amdhsa_group_segment_fixed_size 11264
		.amdhsa_private_segment_fixed_size 0
		.amdhsa_kernarg_size 8
		.amdhsa_user_sgpr_count 6
		.amdhsa_user_sgpr_private_segment_buffer 1
		.amdhsa_user_sgpr_dispatch_ptr 0
		.amdhsa_user_sgpr_queue_ptr 0
		.amdhsa_user_sgpr_kernarg_segment_ptr 1
		.amdhsa_user_sgpr_dispatch_id 0
		.amdhsa_user_sgpr_flat_scratch_init 0
		.amdhsa_user_sgpr_private_segment_size 0
		.amdhsa_uses_dynamic_stack 0
		.amdhsa_system_sgpr_private_segment_wavefront_offset 0
		.amdhsa_system_sgpr_workgroup_id_x 1
		.amdhsa_system_sgpr_workgroup_id_y 0
		.amdhsa_system_sgpr_workgroup_id_z 0
		.amdhsa_system_sgpr_workgroup_info 0
		.amdhsa_system_vgpr_workitem_id 0
		.amdhsa_next_free_vgpr 41
		.amdhsa_next_free_sgpr 98
		.amdhsa_reserve_vcc 1
		.amdhsa_reserve_flat_scratch 0
		.amdhsa_float_round_mode_32 0
		.amdhsa_float_round_mode_16_64 0
		.amdhsa_float_denorm_mode_32 3
		.amdhsa_float_denorm_mode_16_64 3
		.amdhsa_dx10_clamp 1
		.amdhsa_ieee_mode 1
		.amdhsa_fp16_overflow 0
		.amdhsa_exception_fp_ieee_invalid_op 0
		.amdhsa_exception_fp_denorm_src 0
		.amdhsa_exception_fp_ieee_div_zero 0
		.amdhsa_exception_fp_ieee_overflow 0
		.amdhsa_exception_fp_ieee_underflow 0
		.amdhsa_exception_fp_ieee_inexact 0
		.amdhsa_exception_int_div_zero 0
	.end_amdhsa_kernel
	.section	.text._ZN9rocsparseL35csrgemm_symbolic_group_reduce_part3ILj256ELj11EiEEvPT1_,"axG",@progbits,_ZN9rocsparseL35csrgemm_symbolic_group_reduce_part3ILj256ELj11EiEEvPT1_,comdat
.Lfunc_end3:
	.size	_ZN9rocsparseL35csrgemm_symbolic_group_reduce_part3ILj256ELj11EiEEvPT1_, .Lfunc_end3-_ZN9rocsparseL35csrgemm_symbolic_group_reduce_part3ILj256ELj11EiEEvPT1_
                                        ; -- End function
	.set _ZN9rocsparseL35csrgemm_symbolic_group_reduce_part3ILj256ELj11EiEEvPT1_.num_vgpr, 22
	.set _ZN9rocsparseL35csrgemm_symbolic_group_reduce_part3ILj256ELj11EiEEvPT1_.num_agpr, 0
	.set _ZN9rocsparseL35csrgemm_symbolic_group_reduce_part3ILj256ELj11EiEEvPT1_.numbered_sgpr, 6
	.set _ZN9rocsparseL35csrgemm_symbolic_group_reduce_part3ILj256ELj11EiEEvPT1_.num_named_barrier, 0
	.set _ZN9rocsparseL35csrgemm_symbolic_group_reduce_part3ILj256ELj11EiEEvPT1_.private_seg_size, 0
	.set _ZN9rocsparseL35csrgemm_symbolic_group_reduce_part3ILj256ELj11EiEEvPT1_.uses_vcc, 1
	.set _ZN9rocsparseL35csrgemm_symbolic_group_reduce_part3ILj256ELj11EiEEvPT1_.uses_flat_scratch, 0
	.set _ZN9rocsparseL35csrgemm_symbolic_group_reduce_part3ILj256ELj11EiEEvPT1_.has_dyn_sized_stack, 0
	.set _ZN9rocsparseL35csrgemm_symbolic_group_reduce_part3ILj256ELj11EiEEvPT1_.has_recursion, 0
	.set _ZN9rocsparseL35csrgemm_symbolic_group_reduce_part3ILj256ELj11EiEEvPT1_.has_indirect_call, 0
	.section	.AMDGPU.csdata,"",@progbits
; Kernel info:
; codeLenInByte = 2192
; TotalNumSgprs: 10
; NumVgprs: 22
; ScratchSize: 0
; MemoryBound: 0
; FloatMode: 240
; IeeeMode: 1
; LDSByteSize: 11264 bytes/workgroup (compile time only)
; SGPRBlocks: 12
; VGPRBlocks: 10
; NumSGPRsForWavesPerEU: 102
; NumVGPRsForWavesPerEU: 41
; Occupancy: 5
; WaveLimiterHint : 0
; COMPUTE_PGM_RSRC2:SCRATCH_EN: 0
; COMPUTE_PGM_RSRC2:USER_SGPR: 6
; COMPUTE_PGM_RSRC2:TRAP_HANDLER: 0
; COMPUTE_PGM_RSRC2:TGID_X_EN: 1
; COMPUTE_PGM_RSRC2:TGID_Y_EN: 0
; COMPUTE_PGM_RSRC2:TGID_Z_EN: 0
; COMPUTE_PGM_RSRC2:TIDIG_COMP_CNT: 0
	.section	.text._ZN9rocsparseL32csrgemm_symbolic_fill_wf_per_rowILj256ELj8ELj16ELj137EiiEEvT4_S1_PKS1_S3_PKT3_S3_S6_S3_S6_S3_S6_PS1_21rocsparse_index_base_S8_S8_S8_bb,"axG",@progbits,_ZN9rocsparseL32csrgemm_symbolic_fill_wf_per_rowILj256ELj8ELj16ELj137EiiEEvT4_S1_PKS1_S3_PKT3_S3_S6_S3_S6_S3_S6_PS1_21rocsparse_index_base_S8_S8_S8_bb,comdat
	.globl	_ZN9rocsparseL32csrgemm_symbolic_fill_wf_per_rowILj256ELj8ELj16ELj137EiiEEvT4_S1_PKS1_S3_PKT3_S3_S6_S3_S6_S3_S6_PS1_21rocsparse_index_base_S8_S8_S8_bb ; -- Begin function _ZN9rocsparseL32csrgemm_symbolic_fill_wf_per_rowILj256ELj8ELj16ELj137EiiEEvT4_S1_PKS1_S3_PKT3_S3_S6_S3_S6_S3_S6_PS1_21rocsparse_index_base_S8_S8_S8_bb
	.p2align	8
	.type	_ZN9rocsparseL32csrgemm_symbolic_fill_wf_per_rowILj256ELj8ELj16ELj137EiiEEvT4_S1_PKS1_S3_PKT3_S3_S6_S3_S6_S3_S6_PS1_21rocsparse_index_base_S8_S8_S8_bb,@function
_ZN9rocsparseL32csrgemm_symbolic_fill_wf_per_rowILj256ELj8ELj16ELj137EiiEEvT4_S1_PKS1_S3_PKT3_S3_S6_S3_S6_S3_S6_PS1_21rocsparse_index_base_S8_S8_S8_bb: ; @_ZN9rocsparseL32csrgemm_symbolic_fill_wf_per_rowILj256ELj8ELj16ELj137EiiEEvT4_S1_PKS1_S3_PKT3_S3_S6_S3_S6_S3_S6_PS1_21rocsparse_index_base_S8_S8_S8_bb
; %bb.0:
	s_load_dwordx2 s[28:29], s[4:5], 0x50
	s_load_dwordx4 s[24:27], s[4:5], 0x40
	s_load_dwordx8 s[8:15], s[4:5], 0x0
	s_load_dwordx8 s[16:23], s[4:5], 0x20
	v_and_b32_e32 v8, 7, v0
	v_lshrrev_b32_e32 v0, 3, v0
	v_lshlrev_b32_e32 v5, 6, v0
	v_or_b32_e32 v6, -8, v8
	v_lshl_or_b32 v7, v8, 2, v5
	s_mov_b64 s[0:1], 0
	s_waitcnt lgkmcnt(0)
	v_mov_b32_e32 v1, s9
	v_mov_b32_e32 v2, v7
	;; [unrolled: 1-line block ×3, first 2 shown]
.LBB4_1:                                ; =>This Inner Loop Header: Depth=1
	v_add_co_u32_e32 v3, vcc, 8, v3
	s_xor_b64 s[2:3], vcc, -1
	s_and_b64 s[2:3], exec, s[2:3]
	ds_write_b32 v2, v1
	s_or_b64 s[0:1], s[2:3], s[0:1]
	v_add_u32_e32 v2, 32, v2
	s_andn2_b64 exec, exec, s[0:1]
	s_cbranch_execnz .LBB4_1
; %bb.2:
	s_or_b64 exec, exec, s[0:1]
	s_lshl_b32 s0, s6, 5
	s_and_b32 s0, s0, 0x1fffffe0
	v_or_b32_e32 v0, s0, v0
	v_cmp_gt_i32_e32 vcc, s8, v0
	s_waitcnt lgkmcnt(0)
	s_and_saveexec_b64 s[0:1], vcc
	s_cbranch_execz .LBB4_38
; %bb.3:
	s_cmp_eq_u64 s[12:13], 0
	s_cbranch_scc1 .LBB4_5
; %bb.4:
	s_load_dword s0, s[10:11], 0x0
	v_mov_b32_e32 v2, s13
	s_waitcnt lgkmcnt(0)
	v_add_u32_e32 v0, s0, v0
	v_ashrrev_i32_e32 v1, 31, v0
	v_lshlrev_b64 v[0:1], 2, v[0:1]
	v_add_co_u32_e32 v0, vcc, s12, v0
	v_addc_co_u32_e32 v1, vcc, v2, v1, vcc
	global_load_dword v0, v[0:1], off
.LBB4_5:
	s_load_dword s8, s[4:5], 0x68
	s_load_dwordx4 s[0:3], s[4:5], 0x58
	s_waitcnt vmcnt(0)
	v_ashrrev_i32_e32 v1, 31, v0
	v_lshlrev_b64 v[0:1], 2, v[0:1]
	s_waitcnt lgkmcnt(0)
	s_bitcmp0_b32 s8, 0
	s_cbranch_scc1 .LBB4_21
; %bb.6:
	v_mov_b32_e32 v3, s15
	v_add_co_u32_e32 v2, vcc, s14, v0
	v_addc_co_u32_e32 v3, vcc, v3, v1, vcc
	global_load_dwordx2 v[2:3], v[2:3], off
	v_subrev_u32_e32 v4, s0, v8
	s_waitcnt vmcnt(0)
	v_subrev_u32_e32 v9, s0, v3
	v_add_u32_e32 v2, v2, v4
	v_cmp_lt_i32_e32 vcc, v2, v9
	s_and_saveexec_b64 s[4:5], vcc
	s_cbranch_execz .LBB4_20
; %bb.7:
	s_mov_b64 s[6:7], 0
	v_mov_b32_e32 v10, s17
	v_mov_b32_e32 v11, s19
	s_branch .LBB4_9
.LBB4_8:                                ;   in Loop: Header=BB4_9 Depth=1
	s_or_b64 exec, exec, s[10:11]
	v_add_u32_e32 v2, 8, v2
	v_cmp_ge_i32_e32 vcc, v2, v9
	s_or_b64 s[6:7], vcc, s[6:7]
	s_andn2_b64 exec, exec, s[6:7]
	s_cbranch_execz .LBB4_20
.LBB4_9:                                ; =>This Loop Header: Depth=1
                                        ;     Child Loop BB4_12 Depth 2
                                        ;       Child Loop BB4_15 Depth 3
	v_ashrrev_i32_e32 v3, 31, v2
	v_lshlrev_b64 v[3:4], 2, v[2:3]
	v_add_co_u32_e32 v3, vcc, s16, v3
	v_addc_co_u32_e32 v4, vcc, v10, v4, vcc
	global_load_dword v3, v[3:4], off
	s_waitcnt vmcnt(0)
	v_subrev_u32_e32 v3, s0, v3
	v_ashrrev_i32_e32 v4, 31, v3
	v_lshlrev_b64 v[3:4], 2, v[3:4]
	v_add_co_u32_e32 v3, vcc, s18, v3
	v_addc_co_u32_e32 v4, vcc, v11, v4, vcc
	global_load_dwordx2 v[3:4], v[3:4], off
	s_waitcnt vmcnt(0)
	v_cmp_lt_i32_e32 vcc, v3, v4
	s_and_saveexec_b64 s[10:11], vcc
	s_cbranch_execz .LBB4_8
; %bb.10:                               ;   in Loop: Header=BB4_9 Depth=1
	v_subrev_u32_e32 v12, s1, v4
	v_subrev_u32_e32 v3, s1, v3
	s_mov_b64 s[12:13], 0
	s_branch .LBB4_12
.LBB4_11:                               ;   in Loop: Header=BB4_12 Depth=2
	s_or_b64 exec, exec, s[30:31]
	v_add_u32_e32 v3, 1, v3
	v_cmp_ge_i32_e32 vcc, v3, v12
	s_or_b64 s[12:13], vcc, s[12:13]
	s_andn2_b64 exec, exec, s[12:13]
	s_cbranch_execz .LBB4_8
.LBB4_12:                               ;   Parent Loop BB4_9 Depth=1
                                        ; =>  This Loop Header: Depth=2
                                        ;       Child Loop BB4_15 Depth 3
	v_ashrrev_i32_e32 v4, 31, v3
	v_lshlrev_b64 v[13:14], 2, v[3:4]
	v_mov_b32_e32 v4, s21
	v_add_co_u32_e32 v13, vcc, s20, v13
	v_addc_co_u32_e32 v14, vcc, v4, v14, vcc
	global_load_dword v4, v[13:14], off
	s_mov_b64 s[30:31], 0
                                        ; implicit-def: $sgpr14_sgpr15
	s_waitcnt vmcnt(0)
	v_subrev_u32_e32 v4, s1, v4
	v_lshl_add_u32 v13, v4, 3, v4
	v_and_b32_e32 v13, 15, v13
	s_branch .LBB4_15
.LBB4_13:                               ;   in Loop: Header=BB4_15 Depth=3
	s_or_b64 exec, exec, s[36:37]
	s_andn2_b64 s[14:15], s[14:15], exec
	s_and_b64 s[36:37], s[38:39], exec
	s_or_b64 s[14:15], s[14:15], s[36:37]
.LBB4_14:                               ;   in Loop: Header=BB4_15 Depth=3
	s_or_b64 exec, exec, s[34:35]
	s_xor_b64 s[34:35], s[14:15], -1
	s_and_b64 s[34:35], exec, s[34:35]
	s_or_b64 s[30:31], s[34:35], s[30:31]
	s_andn2_b64 exec, exec, s[30:31]
	s_cbranch_execz .LBB4_11
.LBB4_15:                               ;   Parent Loop BB4_9 Depth=1
                                        ;     Parent Loop BB4_12 Depth=2
                                        ; =>    This Inner Loop Header: Depth=3
	v_lshl_add_u32 v14, v13, 2, v5
	ds_read_b32 v15, v14
	s_andn2_b64 s[14:15], s[14:15], exec
	s_waitcnt lgkmcnt(0)
	v_cmp_ne_u32_e32 vcc, v15, v4
	s_and_saveexec_b64 s[34:35], vcc
	s_cbranch_execz .LBB4_14
; %bb.16:                               ;   in Loop: Header=BB4_15 Depth=3
	v_cmp_ne_u32_e32 vcc, s9, v15
	s_and_saveexec_b64 s[36:37], vcc
	s_xor_b64 s[36:37], exec, s[36:37]
; %bb.17:                               ;   in Loop: Header=BB4_15 Depth=3
	v_add_u32_e32 v13, 1, v13
	v_and_b32_e32 v13, 15, v13
                                        ; implicit-def: $vgpr14
; %bb.18:                               ;   in Loop: Header=BB4_15 Depth=3
	s_or_saveexec_b64 s[36:37], s[36:37]
	s_mov_b64 s[38:39], -1
	s_xor_b64 exec, exec, s[36:37]
	s_cbranch_execz .LBB4_13
; %bb.19:                               ;   in Loop: Header=BB4_15 Depth=3
	v_mov_b32_e32 v15, s9
	ds_cmpst_rtn_b32 v14, v14, v15, v4
	s_waitcnt lgkmcnt(0)
	v_cmp_ne_u32_e32 vcc, s9, v14
	s_orn2_b64 s[38:39], vcc, exec
	s_branch .LBB4_13
.LBB4_20:
	s_or_b64 exec, exec, s[4:5]
.LBB4_21:
	s_bfe_u32 s0, s8, 0x10008
	s_cmp_eq_u32 s0, 0
	s_cbranch_scc1 .LBB4_34
; %bb.22:
	v_mov_b32_e32 v3, s23
	v_add_co_u32_e32 v2, vcc, s22, v0
	v_addc_co_u32_e32 v3, vcc, v3, v1, vcc
	global_load_dwordx2 v[2:3], v[2:3], off
	v_subrev_u32_e32 v8, s3, v8
	s_waitcnt vmcnt(0)
	v_subrev_u32_e32 v4, s3, v3
	v_add_u32_e32 v2, v2, v8
	v_cmp_lt_i32_e32 vcc, v2, v4
	s_and_saveexec_b64 s[0:1], vcc
	s_cbranch_execz .LBB4_33
; %bb.23:
	s_mov_b64 s[4:5], 0
	v_mov_b32_e32 v8, s25
	s_branch .LBB4_25
.LBB4_24:                               ;   in Loop: Header=BB4_25 Depth=1
	s_or_b64 exec, exec, s[10:11]
	v_add_u32_e32 v2, 8, v2
	v_cmp_ge_i32_e32 vcc, v2, v4
	s_or_b64 s[4:5], vcc, s[4:5]
	s_andn2_b64 exec, exec, s[4:5]
	s_cbranch_execz .LBB4_33
.LBB4_25:                               ; =>This Loop Header: Depth=1
                                        ;     Child Loop BB4_28 Depth 2
	v_ashrrev_i32_e32 v3, 31, v2
	v_lshlrev_b64 v[9:10], 2, v[2:3]
	s_mov_b64 s[10:11], 0
	v_add_co_u32_e32 v9, vcc, s24, v9
	v_addc_co_u32_e32 v10, vcc, v8, v10, vcc
	global_load_dword v3, v[9:10], off
                                        ; implicit-def: $sgpr6_sgpr7
	s_waitcnt vmcnt(0)
	v_subrev_u32_e32 v3, s3, v3
	v_lshl_add_u32 v9, v3, 3, v3
	v_and_b32_e32 v9, 15, v9
	s_branch .LBB4_28
.LBB4_26:                               ;   in Loop: Header=BB4_28 Depth=2
	s_or_b64 exec, exec, s[14:15]
	s_andn2_b64 s[6:7], s[6:7], exec
	s_and_b64 s[14:15], s[16:17], exec
	s_or_b64 s[6:7], s[6:7], s[14:15]
.LBB4_27:                               ;   in Loop: Header=BB4_28 Depth=2
	s_or_b64 exec, exec, s[12:13]
	s_xor_b64 s[12:13], s[6:7], -1
	s_and_b64 s[12:13], exec, s[12:13]
	s_or_b64 s[10:11], s[12:13], s[10:11]
	s_andn2_b64 exec, exec, s[10:11]
	s_cbranch_execz .LBB4_24
.LBB4_28:                               ;   Parent Loop BB4_25 Depth=1
                                        ; =>  This Inner Loop Header: Depth=2
	v_lshl_add_u32 v10, v9, 2, v5
	ds_read_b32 v11, v10
	s_andn2_b64 s[6:7], s[6:7], exec
	s_waitcnt lgkmcnt(0)
	v_cmp_ne_u32_e32 vcc, v11, v3
	s_and_saveexec_b64 s[12:13], vcc
	s_cbranch_execz .LBB4_27
; %bb.29:                               ;   in Loop: Header=BB4_28 Depth=2
	v_cmp_ne_u32_e32 vcc, s9, v11
	s_and_saveexec_b64 s[14:15], vcc
	s_xor_b64 s[14:15], exec, s[14:15]
; %bb.30:                               ;   in Loop: Header=BB4_28 Depth=2
	v_add_u32_e32 v9, 1, v9
	v_and_b32_e32 v9, 15, v9
                                        ; implicit-def: $vgpr10
; %bb.31:                               ;   in Loop: Header=BB4_28 Depth=2
	s_or_saveexec_b64 s[14:15], s[14:15]
	s_mov_b64 s[16:17], -1
	s_xor_b64 exec, exec, s[14:15]
	s_cbranch_execz .LBB4_26
; %bb.32:                               ;   in Loop: Header=BB4_28 Depth=2
	v_mov_b32_e32 v11, s9
	ds_cmpst_rtn_b32 v10, v10, v11, v3
	s_waitcnt lgkmcnt(0)
	v_cmp_ne_u32_e32 vcc, s9, v10
	s_orn2_b64 s[16:17], vcc, exec
	s_branch .LBB4_26
.LBB4_33:
	s_or_b64 exec, exec, s[0:1]
.LBB4_34:
	v_mov_b32_e32 v2, s27
	v_add_co_u32_e32 v0, vcc, s26, v0
	v_addc_co_u32_e32 v1, vcc, v2, v1, vcc
	global_load_dword v0, v[0:1], off
	s_mov_b64 s[0:1], 0
	s_waitcnt vmcnt(0)
	v_subrev_u32_e32 v0, s2, v0
	s_branch .LBB4_36
.LBB4_35:                               ;   in Loop: Header=BB4_36 Depth=1
	s_or_b64 exec, exec, s[4:5]
	v_add_co_u32_e32 v6, vcc, 8, v6
	s_xor_b64 s[4:5], vcc, -1
	s_and_b64 s[4:5], exec, s[4:5]
	s_or_b64 s[0:1], s[4:5], s[0:1]
	v_add_u32_e32 v7, 32, v7
	s_andn2_b64 exec, exec, s[0:1]
	s_cbranch_execz .LBB4_38
.LBB4_36:                               ; =>This Inner Loop Header: Depth=1
	ds_read_b32 v1, v7
	s_waitcnt lgkmcnt(0)
	v_cmp_gt_i32_e32 vcc, s9, v1
	s_and_saveexec_b64 s[4:5], vcc
	s_cbranch_execz .LBB4_35
; %bb.37:                               ;   in Loop: Header=BB4_36 Depth=1
	ds_read_b128 v[8:11], v5
	ds_read_b128 v[12:15], v5 offset:16
	v_add_u32_e32 v4, s2, v1
	s_waitcnt lgkmcnt(1)
	v_cmp_gt_i32_e32 vcc, v1, v8
	v_cndmask_b32_e64 v2, 0, 1, vcc
	v_cmp_gt_i32_e32 vcc, v1, v9
	v_addc_co_u32_e32 v2, vcc, v0, v2, vcc
	v_cmp_gt_i32_e32 vcc, v1, v10
	v_cndmask_b32_e64 v3, 0, 1, vcc
	v_cmp_gt_i32_e32 vcc, v1, v11
	v_addc_co_u32_e32 v2, vcc, v2, v3, vcc
	s_waitcnt lgkmcnt(0)
	v_cmp_gt_i32_e32 vcc, v1, v12
	v_cndmask_b32_e64 v3, 0, 1, vcc
	v_cmp_gt_i32_e32 vcc, v1, v13
	ds_read_b128 v[8:11], v5 offset:32
	ds_read_b128 v[16:19], v5 offset:48
	v_addc_co_u32_e32 v2, vcc, v2, v3, vcc
	v_cmp_gt_i32_e32 vcc, v1, v14
	v_cndmask_b32_e64 v3, 0, 1, vcc
	v_cmp_gt_i32_e32 vcc, v1, v15
	v_addc_co_u32_e32 v2, vcc, v2, v3, vcc
	s_waitcnt lgkmcnt(1)
	v_cmp_gt_i32_e32 vcc, v1, v8
	v_cndmask_b32_e64 v3, 0, 1, vcc
	v_cmp_gt_i32_e32 vcc, v1, v9
	v_addc_co_u32_e32 v2, vcc, v2, v3, vcc
	v_cmp_gt_i32_e32 vcc, v1, v10
	v_cndmask_b32_e64 v3, 0, 1, vcc
	v_cmp_gt_i32_e32 vcc, v1, v11
	v_addc_co_u32_e32 v2, vcc, v2, v3, vcc
	s_waitcnt lgkmcnt(0)
	v_cmp_gt_i32_e32 vcc, v1, v16
	v_cndmask_b32_e64 v3, 0, 1, vcc
	v_cmp_gt_i32_e32 vcc, v1, v17
	v_addc_co_u32_e32 v2, vcc, v2, v3, vcc
	v_cmp_gt_i32_e32 vcc, v1, v18
	v_cndmask_b32_e64 v3, 0, 1, vcc
	v_cmp_gt_i32_e32 vcc, v1, v19
	v_addc_co_u32_e32 v2, vcc, v2, v3, vcc
	v_ashrrev_i32_e32 v3, 31, v2
	v_lshlrev_b64 v[1:2], 2, v[2:3]
	v_mov_b32_e32 v3, s29
	v_add_co_u32_e32 v1, vcc, s28, v1
	v_addc_co_u32_e32 v2, vcc, v3, v2, vcc
	global_store_dword v[1:2], v4, off
	s_branch .LBB4_35
.LBB4_38:
	s_endpgm
	.section	.rodata,"a",@progbits
	.p2align	6, 0x0
	.amdhsa_kernel _ZN9rocsparseL32csrgemm_symbolic_fill_wf_per_rowILj256ELj8ELj16ELj137EiiEEvT4_S1_PKS1_S3_PKT3_S3_S6_S3_S6_S3_S6_PS1_21rocsparse_index_base_S8_S8_S8_bb
		.amdhsa_group_segment_fixed_size 2048
		.amdhsa_private_segment_fixed_size 0
		.amdhsa_kernarg_size 108
		.amdhsa_user_sgpr_count 6
		.amdhsa_user_sgpr_private_segment_buffer 1
		.amdhsa_user_sgpr_dispatch_ptr 0
		.amdhsa_user_sgpr_queue_ptr 0
		.amdhsa_user_sgpr_kernarg_segment_ptr 1
		.amdhsa_user_sgpr_dispatch_id 0
		.amdhsa_user_sgpr_flat_scratch_init 0
		.amdhsa_user_sgpr_private_segment_size 0
		.amdhsa_uses_dynamic_stack 0
		.amdhsa_system_sgpr_private_segment_wavefront_offset 0
		.amdhsa_system_sgpr_workgroup_id_x 1
		.amdhsa_system_sgpr_workgroup_id_y 0
		.amdhsa_system_sgpr_workgroup_id_z 0
		.amdhsa_system_sgpr_workgroup_info 0
		.amdhsa_system_vgpr_workitem_id 0
		.amdhsa_next_free_vgpr 20
		.amdhsa_next_free_sgpr 40
		.amdhsa_reserve_vcc 1
		.amdhsa_reserve_flat_scratch 0
		.amdhsa_float_round_mode_32 0
		.amdhsa_float_round_mode_16_64 0
		.amdhsa_float_denorm_mode_32 3
		.amdhsa_float_denorm_mode_16_64 3
		.amdhsa_dx10_clamp 1
		.amdhsa_ieee_mode 1
		.amdhsa_fp16_overflow 0
		.amdhsa_exception_fp_ieee_invalid_op 0
		.amdhsa_exception_fp_denorm_src 0
		.amdhsa_exception_fp_ieee_div_zero 0
		.amdhsa_exception_fp_ieee_overflow 0
		.amdhsa_exception_fp_ieee_underflow 0
		.amdhsa_exception_fp_ieee_inexact 0
		.amdhsa_exception_int_div_zero 0
	.end_amdhsa_kernel
	.section	.text._ZN9rocsparseL32csrgemm_symbolic_fill_wf_per_rowILj256ELj8ELj16ELj137EiiEEvT4_S1_PKS1_S3_PKT3_S3_S6_S3_S6_S3_S6_PS1_21rocsparse_index_base_S8_S8_S8_bb,"axG",@progbits,_ZN9rocsparseL32csrgemm_symbolic_fill_wf_per_rowILj256ELj8ELj16ELj137EiiEEvT4_S1_PKS1_S3_PKT3_S3_S6_S3_S6_S3_S6_PS1_21rocsparse_index_base_S8_S8_S8_bb,comdat
.Lfunc_end4:
	.size	_ZN9rocsparseL32csrgemm_symbolic_fill_wf_per_rowILj256ELj8ELj16ELj137EiiEEvT4_S1_PKS1_S3_PKT3_S3_S6_S3_S6_S3_S6_PS1_21rocsparse_index_base_S8_S8_S8_bb, .Lfunc_end4-_ZN9rocsparseL32csrgemm_symbolic_fill_wf_per_rowILj256ELj8ELj16ELj137EiiEEvT4_S1_PKS1_S3_PKT3_S3_S6_S3_S6_S3_S6_PS1_21rocsparse_index_base_S8_S8_S8_bb
                                        ; -- End function
	.set _ZN9rocsparseL32csrgemm_symbolic_fill_wf_per_rowILj256ELj8ELj16ELj137EiiEEvT4_S1_PKS1_S3_PKT3_S3_S6_S3_S6_S3_S6_PS1_21rocsparse_index_base_S8_S8_S8_bb.num_vgpr, 20
	.set _ZN9rocsparseL32csrgemm_symbolic_fill_wf_per_rowILj256ELj8ELj16ELj137EiiEEvT4_S1_PKS1_S3_PKT3_S3_S6_S3_S6_S3_S6_PS1_21rocsparse_index_base_S8_S8_S8_bb.num_agpr, 0
	.set _ZN9rocsparseL32csrgemm_symbolic_fill_wf_per_rowILj256ELj8ELj16ELj137EiiEEvT4_S1_PKS1_S3_PKT3_S3_S6_S3_S6_S3_S6_PS1_21rocsparse_index_base_S8_S8_S8_bb.numbered_sgpr, 40
	.set _ZN9rocsparseL32csrgemm_symbolic_fill_wf_per_rowILj256ELj8ELj16ELj137EiiEEvT4_S1_PKS1_S3_PKT3_S3_S6_S3_S6_S3_S6_PS1_21rocsparse_index_base_S8_S8_S8_bb.num_named_barrier, 0
	.set _ZN9rocsparseL32csrgemm_symbolic_fill_wf_per_rowILj256ELj8ELj16ELj137EiiEEvT4_S1_PKS1_S3_PKT3_S3_S6_S3_S6_S3_S6_PS1_21rocsparse_index_base_S8_S8_S8_bb.private_seg_size, 0
	.set _ZN9rocsparseL32csrgemm_symbolic_fill_wf_per_rowILj256ELj8ELj16ELj137EiiEEvT4_S1_PKS1_S3_PKT3_S3_S6_S3_S6_S3_S6_PS1_21rocsparse_index_base_S8_S8_S8_bb.uses_vcc, 1
	.set _ZN9rocsparseL32csrgemm_symbolic_fill_wf_per_rowILj256ELj8ELj16ELj137EiiEEvT4_S1_PKS1_S3_PKT3_S3_S6_S3_S6_S3_S6_PS1_21rocsparse_index_base_S8_S8_S8_bb.uses_flat_scratch, 0
	.set _ZN9rocsparseL32csrgemm_symbolic_fill_wf_per_rowILj256ELj8ELj16ELj137EiiEEvT4_S1_PKS1_S3_PKT3_S3_S6_S3_S6_S3_S6_PS1_21rocsparse_index_base_S8_S8_S8_bb.has_dyn_sized_stack, 0
	.set _ZN9rocsparseL32csrgemm_symbolic_fill_wf_per_rowILj256ELj8ELj16ELj137EiiEEvT4_S1_PKS1_S3_PKT3_S3_S6_S3_S6_S3_S6_PS1_21rocsparse_index_base_S8_S8_S8_bb.has_recursion, 0
	.set _ZN9rocsparseL32csrgemm_symbolic_fill_wf_per_rowILj256ELj8ELj16ELj137EiiEEvT4_S1_PKS1_S3_PKT3_S3_S6_S3_S6_S3_S6_PS1_21rocsparse_index_base_S8_S8_S8_bb.has_indirect_call, 0
	.section	.AMDGPU.csdata,"",@progbits
; Kernel info:
; codeLenInByte = 1304
; TotalNumSgprs: 44
; NumVgprs: 20
; ScratchSize: 0
; MemoryBound: 0
; FloatMode: 240
; IeeeMode: 1
; LDSByteSize: 2048 bytes/workgroup (compile time only)
; SGPRBlocks: 5
; VGPRBlocks: 4
; NumSGPRsForWavesPerEU: 44
; NumVGPRsForWavesPerEU: 20
; Occupancy: 10
; WaveLimiterHint : 1
; COMPUTE_PGM_RSRC2:SCRATCH_EN: 0
; COMPUTE_PGM_RSRC2:USER_SGPR: 6
; COMPUTE_PGM_RSRC2:TRAP_HANDLER: 0
; COMPUTE_PGM_RSRC2:TGID_X_EN: 1
; COMPUTE_PGM_RSRC2:TGID_Y_EN: 0
; COMPUTE_PGM_RSRC2:TGID_Z_EN: 0
; COMPUTE_PGM_RSRC2:TIDIG_COMP_CNT: 0
	.section	.text._ZN9rocsparseL32csrgemm_symbolic_fill_wf_per_rowILj256ELj16ELj32ELj137EiiEEvT4_S1_PKS1_S3_PKT3_S3_S6_S3_S6_S3_S6_PS1_21rocsparse_index_base_S8_S8_S8_bb,"axG",@progbits,_ZN9rocsparseL32csrgemm_symbolic_fill_wf_per_rowILj256ELj16ELj32ELj137EiiEEvT4_S1_PKS1_S3_PKT3_S3_S6_S3_S6_S3_S6_PS1_21rocsparse_index_base_S8_S8_S8_bb,comdat
	.globl	_ZN9rocsparseL32csrgemm_symbolic_fill_wf_per_rowILj256ELj16ELj32ELj137EiiEEvT4_S1_PKS1_S3_PKT3_S3_S6_S3_S6_S3_S6_PS1_21rocsparse_index_base_S8_S8_S8_bb ; -- Begin function _ZN9rocsparseL32csrgemm_symbolic_fill_wf_per_rowILj256ELj16ELj32ELj137EiiEEvT4_S1_PKS1_S3_PKT3_S3_S6_S3_S6_S3_S6_PS1_21rocsparse_index_base_S8_S8_S8_bb
	.p2align	8
	.type	_ZN9rocsparseL32csrgemm_symbolic_fill_wf_per_rowILj256ELj16ELj32ELj137EiiEEvT4_S1_PKS1_S3_PKT3_S3_S6_S3_S6_S3_S6_PS1_21rocsparse_index_base_S8_S8_S8_bb,@function
_ZN9rocsparseL32csrgemm_symbolic_fill_wf_per_rowILj256ELj16ELj32ELj137EiiEEvT4_S1_PKS1_S3_PKT3_S3_S6_S3_S6_S3_S6_PS1_21rocsparse_index_base_S8_S8_S8_bb: ; @_ZN9rocsparseL32csrgemm_symbolic_fill_wf_per_rowILj256ELj16ELj32ELj137EiiEEvT4_S1_PKS1_S3_PKT3_S3_S6_S3_S6_S3_S6_PS1_21rocsparse_index_base_S8_S8_S8_bb
; %bb.0:
	s_load_dwordx2 s[28:29], s[4:5], 0x50
	s_load_dwordx4 s[24:27], s[4:5], 0x40
	s_load_dwordx8 s[8:15], s[4:5], 0x0
	s_load_dwordx8 s[16:23], s[4:5], 0x20
	v_and_b32_e32 v8, 15, v0
	v_lshrrev_b32_e32 v0, 4, v0
	v_lshlrev_b32_e32 v5, 7, v0
	v_or_b32_e32 v6, -16, v8
	v_lshl_or_b32 v7, v8, 2, v5
	s_mov_b64 s[0:1], 0
	s_waitcnt lgkmcnt(0)
	v_mov_b32_e32 v1, s9
	v_mov_b32_e32 v2, v7
	;; [unrolled: 1-line block ×3, first 2 shown]
.LBB5_1:                                ; =>This Inner Loop Header: Depth=1
	v_add_co_u32_e32 v3, vcc, 16, v3
	s_xor_b64 s[2:3], vcc, -1
	s_and_b64 s[2:3], exec, s[2:3]
	ds_write_b32 v2, v1
	s_or_b64 s[0:1], s[2:3], s[0:1]
	v_add_u32_e32 v2, 64, v2
	s_andn2_b64 exec, exec, s[0:1]
	s_cbranch_execnz .LBB5_1
; %bb.2:
	s_or_b64 exec, exec, s[0:1]
	s_lshl_b32 s0, s6, 4
	s_and_b32 s0, s0, 0xffffff0
	v_or_b32_e32 v0, s0, v0
	v_cmp_gt_i32_e32 vcc, s8, v0
	s_waitcnt lgkmcnt(0)
	s_and_saveexec_b64 s[0:1], vcc
	s_cbranch_execz .LBB5_38
; %bb.3:
	s_cmp_eq_u64 s[12:13], 0
	s_cbranch_scc1 .LBB5_5
; %bb.4:
	s_load_dword s0, s[10:11], 0x0
	v_mov_b32_e32 v2, s13
	s_waitcnt lgkmcnt(0)
	v_add_u32_e32 v0, s0, v0
	v_ashrrev_i32_e32 v1, 31, v0
	v_lshlrev_b64 v[0:1], 2, v[0:1]
	v_add_co_u32_e32 v0, vcc, s12, v0
	v_addc_co_u32_e32 v1, vcc, v2, v1, vcc
	global_load_dword v0, v[0:1], off
.LBB5_5:
	s_load_dword s8, s[4:5], 0x68
	s_load_dwordx4 s[0:3], s[4:5], 0x58
	s_waitcnt vmcnt(0)
	v_ashrrev_i32_e32 v1, 31, v0
	v_lshlrev_b64 v[0:1], 2, v[0:1]
	s_waitcnt lgkmcnt(0)
	s_bitcmp0_b32 s8, 0
	s_cbranch_scc1 .LBB5_21
; %bb.6:
	v_mov_b32_e32 v3, s15
	v_add_co_u32_e32 v2, vcc, s14, v0
	v_addc_co_u32_e32 v3, vcc, v3, v1, vcc
	global_load_dwordx2 v[2:3], v[2:3], off
	v_subrev_u32_e32 v4, s0, v8
	s_waitcnt vmcnt(0)
	v_subrev_u32_e32 v9, s0, v3
	v_add_u32_e32 v2, v2, v4
	v_cmp_lt_i32_e32 vcc, v2, v9
	s_and_saveexec_b64 s[4:5], vcc
	s_cbranch_execz .LBB5_20
; %bb.7:
	s_mov_b64 s[6:7], 0
	v_mov_b32_e32 v10, s17
	v_mov_b32_e32 v11, s19
	s_branch .LBB5_9
.LBB5_8:                                ;   in Loop: Header=BB5_9 Depth=1
	s_or_b64 exec, exec, s[10:11]
	v_add_u32_e32 v2, 16, v2
	v_cmp_ge_i32_e32 vcc, v2, v9
	s_or_b64 s[6:7], vcc, s[6:7]
	s_andn2_b64 exec, exec, s[6:7]
	s_cbranch_execz .LBB5_20
.LBB5_9:                                ; =>This Loop Header: Depth=1
                                        ;     Child Loop BB5_12 Depth 2
                                        ;       Child Loop BB5_15 Depth 3
	v_ashrrev_i32_e32 v3, 31, v2
	v_lshlrev_b64 v[3:4], 2, v[2:3]
	v_add_co_u32_e32 v3, vcc, s16, v3
	v_addc_co_u32_e32 v4, vcc, v10, v4, vcc
	global_load_dword v3, v[3:4], off
	s_waitcnt vmcnt(0)
	v_subrev_u32_e32 v3, s0, v3
	v_ashrrev_i32_e32 v4, 31, v3
	v_lshlrev_b64 v[3:4], 2, v[3:4]
	v_add_co_u32_e32 v3, vcc, s18, v3
	v_addc_co_u32_e32 v4, vcc, v11, v4, vcc
	global_load_dwordx2 v[3:4], v[3:4], off
	s_waitcnt vmcnt(0)
	v_cmp_lt_i32_e32 vcc, v3, v4
	s_and_saveexec_b64 s[10:11], vcc
	s_cbranch_execz .LBB5_8
; %bb.10:                               ;   in Loop: Header=BB5_9 Depth=1
	v_subrev_u32_e32 v12, s1, v4
	v_subrev_u32_e32 v3, s1, v3
	s_mov_b64 s[12:13], 0
	s_branch .LBB5_12
.LBB5_11:                               ;   in Loop: Header=BB5_12 Depth=2
	s_or_b64 exec, exec, s[30:31]
	v_add_u32_e32 v3, 1, v3
	v_cmp_ge_i32_e32 vcc, v3, v12
	s_or_b64 s[12:13], vcc, s[12:13]
	s_andn2_b64 exec, exec, s[12:13]
	s_cbranch_execz .LBB5_8
.LBB5_12:                               ;   Parent Loop BB5_9 Depth=1
                                        ; =>  This Loop Header: Depth=2
                                        ;       Child Loop BB5_15 Depth 3
	v_ashrrev_i32_e32 v4, 31, v3
	v_lshlrev_b64 v[13:14], 2, v[3:4]
	v_mov_b32_e32 v4, s21
	v_add_co_u32_e32 v13, vcc, s20, v13
	v_addc_co_u32_e32 v14, vcc, v4, v14, vcc
	global_load_dword v4, v[13:14], off
	s_mov_b64 s[30:31], 0
                                        ; implicit-def: $sgpr14_sgpr15
	s_waitcnt vmcnt(0)
	v_subrev_u32_e32 v4, s1, v4
	v_lshl_add_u32 v13, v4, 3, v4
	v_and_b32_e32 v13, 31, v13
	s_branch .LBB5_15
.LBB5_13:                               ;   in Loop: Header=BB5_15 Depth=3
	s_or_b64 exec, exec, s[36:37]
	s_andn2_b64 s[14:15], s[14:15], exec
	s_and_b64 s[36:37], s[38:39], exec
	s_or_b64 s[14:15], s[14:15], s[36:37]
.LBB5_14:                               ;   in Loop: Header=BB5_15 Depth=3
	s_or_b64 exec, exec, s[34:35]
	s_xor_b64 s[34:35], s[14:15], -1
	s_and_b64 s[34:35], exec, s[34:35]
	s_or_b64 s[30:31], s[34:35], s[30:31]
	s_andn2_b64 exec, exec, s[30:31]
	s_cbranch_execz .LBB5_11
.LBB5_15:                               ;   Parent Loop BB5_9 Depth=1
                                        ;     Parent Loop BB5_12 Depth=2
                                        ; =>    This Inner Loop Header: Depth=3
	v_lshl_add_u32 v14, v13, 2, v5
	ds_read_b32 v15, v14
	s_andn2_b64 s[14:15], s[14:15], exec
	s_waitcnt lgkmcnt(0)
	v_cmp_ne_u32_e32 vcc, v15, v4
	s_and_saveexec_b64 s[34:35], vcc
	s_cbranch_execz .LBB5_14
; %bb.16:                               ;   in Loop: Header=BB5_15 Depth=3
	v_cmp_ne_u32_e32 vcc, s9, v15
	s_and_saveexec_b64 s[36:37], vcc
	s_xor_b64 s[36:37], exec, s[36:37]
; %bb.17:                               ;   in Loop: Header=BB5_15 Depth=3
	v_add_u32_e32 v13, 1, v13
	v_and_b32_e32 v13, 31, v13
                                        ; implicit-def: $vgpr14
; %bb.18:                               ;   in Loop: Header=BB5_15 Depth=3
	s_or_saveexec_b64 s[36:37], s[36:37]
	s_mov_b64 s[38:39], -1
	s_xor_b64 exec, exec, s[36:37]
	s_cbranch_execz .LBB5_13
; %bb.19:                               ;   in Loop: Header=BB5_15 Depth=3
	v_mov_b32_e32 v15, s9
	ds_cmpst_rtn_b32 v14, v14, v15, v4
	s_waitcnt lgkmcnt(0)
	v_cmp_ne_u32_e32 vcc, s9, v14
	s_orn2_b64 s[38:39], vcc, exec
	s_branch .LBB5_13
.LBB5_20:
	s_or_b64 exec, exec, s[4:5]
.LBB5_21:
	s_bfe_u32 s0, s8, 0x10008
	s_cmp_eq_u32 s0, 0
	s_cbranch_scc1 .LBB5_34
; %bb.22:
	v_mov_b32_e32 v3, s23
	v_add_co_u32_e32 v2, vcc, s22, v0
	v_addc_co_u32_e32 v3, vcc, v3, v1, vcc
	global_load_dwordx2 v[2:3], v[2:3], off
	v_subrev_u32_e32 v8, s3, v8
	s_waitcnt vmcnt(0)
	v_subrev_u32_e32 v4, s3, v3
	v_add_u32_e32 v2, v2, v8
	v_cmp_lt_i32_e32 vcc, v2, v4
	s_and_saveexec_b64 s[0:1], vcc
	s_cbranch_execz .LBB5_33
; %bb.23:
	s_mov_b64 s[4:5], 0
	v_mov_b32_e32 v8, s25
	s_branch .LBB5_25
.LBB5_24:                               ;   in Loop: Header=BB5_25 Depth=1
	s_or_b64 exec, exec, s[10:11]
	v_add_u32_e32 v2, 16, v2
	v_cmp_ge_i32_e32 vcc, v2, v4
	s_or_b64 s[4:5], vcc, s[4:5]
	s_andn2_b64 exec, exec, s[4:5]
	s_cbranch_execz .LBB5_33
.LBB5_25:                               ; =>This Loop Header: Depth=1
                                        ;     Child Loop BB5_28 Depth 2
	v_ashrrev_i32_e32 v3, 31, v2
	v_lshlrev_b64 v[9:10], 2, v[2:3]
	s_mov_b64 s[10:11], 0
	v_add_co_u32_e32 v9, vcc, s24, v9
	v_addc_co_u32_e32 v10, vcc, v8, v10, vcc
	global_load_dword v3, v[9:10], off
                                        ; implicit-def: $sgpr6_sgpr7
	s_waitcnt vmcnt(0)
	v_subrev_u32_e32 v3, s3, v3
	v_lshl_add_u32 v9, v3, 3, v3
	v_and_b32_e32 v9, 31, v9
	s_branch .LBB5_28
.LBB5_26:                               ;   in Loop: Header=BB5_28 Depth=2
	s_or_b64 exec, exec, s[14:15]
	s_andn2_b64 s[6:7], s[6:7], exec
	s_and_b64 s[14:15], s[16:17], exec
	s_or_b64 s[6:7], s[6:7], s[14:15]
.LBB5_27:                               ;   in Loop: Header=BB5_28 Depth=2
	s_or_b64 exec, exec, s[12:13]
	s_xor_b64 s[12:13], s[6:7], -1
	s_and_b64 s[12:13], exec, s[12:13]
	s_or_b64 s[10:11], s[12:13], s[10:11]
	s_andn2_b64 exec, exec, s[10:11]
	s_cbranch_execz .LBB5_24
.LBB5_28:                               ;   Parent Loop BB5_25 Depth=1
                                        ; =>  This Inner Loop Header: Depth=2
	v_lshl_add_u32 v10, v9, 2, v5
	ds_read_b32 v11, v10
	s_andn2_b64 s[6:7], s[6:7], exec
	s_waitcnt lgkmcnt(0)
	v_cmp_ne_u32_e32 vcc, v11, v3
	s_and_saveexec_b64 s[12:13], vcc
	s_cbranch_execz .LBB5_27
; %bb.29:                               ;   in Loop: Header=BB5_28 Depth=2
	v_cmp_ne_u32_e32 vcc, s9, v11
	s_and_saveexec_b64 s[14:15], vcc
	s_xor_b64 s[14:15], exec, s[14:15]
; %bb.30:                               ;   in Loop: Header=BB5_28 Depth=2
	v_add_u32_e32 v9, 1, v9
	v_and_b32_e32 v9, 31, v9
                                        ; implicit-def: $vgpr10
; %bb.31:                               ;   in Loop: Header=BB5_28 Depth=2
	s_or_saveexec_b64 s[14:15], s[14:15]
	s_mov_b64 s[16:17], -1
	s_xor_b64 exec, exec, s[14:15]
	s_cbranch_execz .LBB5_26
; %bb.32:                               ;   in Loop: Header=BB5_28 Depth=2
	v_mov_b32_e32 v11, s9
	ds_cmpst_rtn_b32 v10, v10, v11, v3
	s_waitcnt lgkmcnt(0)
	v_cmp_ne_u32_e32 vcc, s9, v10
	s_orn2_b64 s[16:17], vcc, exec
	s_branch .LBB5_26
.LBB5_33:
	s_or_b64 exec, exec, s[0:1]
.LBB5_34:
	v_mov_b32_e32 v2, s27
	v_add_co_u32_e32 v0, vcc, s26, v0
	v_addc_co_u32_e32 v1, vcc, v2, v1, vcc
	global_load_dword v0, v[0:1], off
	s_mov_b64 s[0:1], 0
	s_waitcnt vmcnt(0)
	v_subrev_u32_e32 v0, s2, v0
	s_branch .LBB5_36
.LBB5_35:                               ;   in Loop: Header=BB5_36 Depth=1
	s_or_b64 exec, exec, s[4:5]
	v_add_co_u32_e32 v6, vcc, 16, v6
	s_xor_b64 s[4:5], vcc, -1
	s_and_b64 s[4:5], exec, s[4:5]
	s_or_b64 s[0:1], s[4:5], s[0:1]
	v_add_u32_e32 v7, 64, v7
	s_andn2_b64 exec, exec, s[0:1]
	s_cbranch_execz .LBB5_38
.LBB5_36:                               ; =>This Inner Loop Header: Depth=1
	ds_read_b32 v1, v7
	s_waitcnt lgkmcnt(0)
	v_cmp_gt_i32_e32 vcc, s9, v1
	s_and_saveexec_b64 s[4:5], vcc
	s_cbranch_execz .LBB5_35
; %bb.37:                               ;   in Loop: Header=BB5_36 Depth=1
	ds_read_b128 v[8:11], v5
	ds_read_b128 v[12:15], v5 offset:16
	v_add_u32_e32 v4, s2, v1
	s_waitcnt lgkmcnt(1)
	v_cmp_gt_i32_e32 vcc, v1, v8
	v_cndmask_b32_e64 v2, 0, 1, vcc
	v_cmp_gt_i32_e32 vcc, v1, v9
	v_addc_co_u32_e32 v2, vcc, v0, v2, vcc
	v_cmp_gt_i32_e32 vcc, v1, v10
	v_cndmask_b32_e64 v3, 0, 1, vcc
	v_cmp_gt_i32_e32 vcc, v1, v11
	v_addc_co_u32_e32 v2, vcc, v2, v3, vcc
	s_waitcnt lgkmcnt(0)
	v_cmp_gt_i32_e32 vcc, v1, v12
	v_cndmask_b32_e64 v3, 0, 1, vcc
	v_cmp_gt_i32_e32 vcc, v1, v13
	ds_read_b128 v[8:11], v5 offset:32
	ds_read_b128 v[16:19], v5 offset:48
	v_addc_co_u32_e32 v2, vcc, v2, v3, vcc
	v_cmp_gt_i32_e32 vcc, v1, v14
	v_cndmask_b32_e64 v3, 0, 1, vcc
	v_cmp_gt_i32_e32 vcc, v1, v15
	v_addc_co_u32_e32 v2, vcc, v2, v3, vcc
	s_waitcnt lgkmcnt(1)
	v_cmp_gt_i32_e32 vcc, v1, v8
	v_cndmask_b32_e64 v3, 0, 1, vcc
	v_cmp_gt_i32_e32 vcc, v1, v9
	v_addc_co_u32_e32 v2, vcc, v2, v3, vcc
	v_cmp_gt_i32_e32 vcc, v1, v10
	v_cndmask_b32_e64 v3, 0, 1, vcc
	v_cmp_gt_i32_e32 vcc, v1, v11
	v_addc_co_u32_e32 v2, vcc, v2, v3, vcc
	s_waitcnt lgkmcnt(0)
	v_cmp_gt_i32_e32 vcc, v1, v16
	v_cndmask_b32_e64 v3, 0, 1, vcc
	v_cmp_gt_i32_e32 vcc, v1, v17
	ds_read_b128 v[8:11], v5 offset:64
	ds_read_b128 v[12:15], v5 offset:80
	v_addc_co_u32_e32 v2, vcc, v2, v3, vcc
	v_cmp_gt_i32_e32 vcc, v1, v18
	v_cndmask_b32_e64 v3, 0, 1, vcc
	v_cmp_gt_i32_e32 vcc, v1, v19
	v_addc_co_u32_e32 v2, vcc, v2, v3, vcc
	s_waitcnt lgkmcnt(1)
	v_cmp_gt_i32_e32 vcc, v1, v8
	v_cndmask_b32_e64 v3, 0, 1, vcc
	v_cmp_gt_i32_e32 vcc, v1, v9
	v_addc_co_u32_e32 v2, vcc, v2, v3, vcc
	v_cmp_gt_i32_e32 vcc, v1, v10
	v_cndmask_b32_e64 v3, 0, 1, vcc
	v_cmp_gt_i32_e32 vcc, v1, v11
	v_addc_co_u32_e32 v2, vcc, v2, v3, vcc
	s_waitcnt lgkmcnt(0)
	v_cmp_gt_i32_e32 vcc, v1, v12
	v_cndmask_b32_e64 v3, 0, 1, vcc
	v_cmp_gt_i32_e32 vcc, v1, v13
	ds_read_b128 v[8:11], v5 offset:96
	v_addc_co_u32_e32 v2, vcc, v2, v3, vcc
	v_cmp_gt_i32_e32 vcc, v1, v14
	v_cndmask_b32_e64 v3, 0, 1, vcc
	v_cmp_gt_i32_e32 vcc, v1, v15
	v_addc_co_u32_e32 v2, vcc, v2, v3, vcc
	ds_read_b128 v[12:15], v5 offset:112
	s_waitcnt lgkmcnt(1)
	v_cmp_gt_i32_e32 vcc, v1, v8
	v_cndmask_b32_e64 v3, 0, 1, vcc
	v_cmp_gt_i32_e32 vcc, v1, v9
	v_addc_co_u32_e32 v2, vcc, v2, v3, vcc
	v_cmp_gt_i32_e32 vcc, v1, v10
	v_cndmask_b32_e64 v3, 0, 1, vcc
	v_cmp_gt_i32_e32 vcc, v1, v11
	v_addc_co_u32_e32 v2, vcc, v2, v3, vcc
	s_waitcnt lgkmcnt(0)
	v_cmp_gt_i32_e32 vcc, v1, v12
	v_cndmask_b32_e64 v3, 0, 1, vcc
	v_cmp_gt_i32_e32 vcc, v1, v13
	v_addc_co_u32_e32 v2, vcc, v2, v3, vcc
	v_cmp_gt_i32_e32 vcc, v1, v14
	v_cndmask_b32_e64 v3, 0, 1, vcc
	v_cmp_gt_i32_e32 vcc, v1, v15
	v_addc_co_u32_e32 v2, vcc, v2, v3, vcc
	v_ashrrev_i32_e32 v3, 31, v2
	v_lshlrev_b64 v[1:2], 2, v[2:3]
	v_mov_b32_e32 v3, s29
	v_add_co_u32_e32 v1, vcc, s28, v1
	v_addc_co_u32_e32 v2, vcc, v3, v2, vcc
	global_store_dword v[1:2], v4, off
	s_branch .LBB5_35
.LBB5_38:
	s_endpgm
	.section	.rodata,"a",@progbits
	.p2align	6, 0x0
	.amdhsa_kernel _ZN9rocsparseL32csrgemm_symbolic_fill_wf_per_rowILj256ELj16ELj32ELj137EiiEEvT4_S1_PKS1_S3_PKT3_S3_S6_S3_S6_S3_S6_PS1_21rocsparse_index_base_S8_S8_S8_bb
		.amdhsa_group_segment_fixed_size 2048
		.amdhsa_private_segment_fixed_size 0
		.amdhsa_kernarg_size 108
		.amdhsa_user_sgpr_count 6
		.amdhsa_user_sgpr_private_segment_buffer 1
		.amdhsa_user_sgpr_dispatch_ptr 0
		.amdhsa_user_sgpr_queue_ptr 0
		.amdhsa_user_sgpr_kernarg_segment_ptr 1
		.amdhsa_user_sgpr_dispatch_id 0
		.amdhsa_user_sgpr_flat_scratch_init 0
		.amdhsa_user_sgpr_private_segment_size 0
		.amdhsa_uses_dynamic_stack 0
		.amdhsa_system_sgpr_private_segment_wavefront_offset 0
		.amdhsa_system_sgpr_workgroup_id_x 1
		.amdhsa_system_sgpr_workgroup_id_y 0
		.amdhsa_system_sgpr_workgroup_id_z 0
		.amdhsa_system_sgpr_workgroup_info 0
		.amdhsa_system_vgpr_workitem_id 0
		.amdhsa_next_free_vgpr 20
		.amdhsa_next_free_sgpr 40
		.amdhsa_reserve_vcc 1
		.amdhsa_reserve_flat_scratch 0
		.amdhsa_float_round_mode_32 0
		.amdhsa_float_round_mode_16_64 0
		.amdhsa_float_denorm_mode_32 3
		.amdhsa_float_denorm_mode_16_64 3
		.amdhsa_dx10_clamp 1
		.amdhsa_ieee_mode 1
		.amdhsa_fp16_overflow 0
		.amdhsa_exception_fp_ieee_invalid_op 0
		.amdhsa_exception_fp_denorm_src 0
		.amdhsa_exception_fp_ieee_div_zero 0
		.amdhsa_exception_fp_ieee_overflow 0
		.amdhsa_exception_fp_ieee_underflow 0
		.amdhsa_exception_fp_ieee_inexact 0
		.amdhsa_exception_int_div_zero 0
	.end_amdhsa_kernel
	.section	.text._ZN9rocsparseL32csrgemm_symbolic_fill_wf_per_rowILj256ELj16ELj32ELj137EiiEEvT4_S1_PKS1_S3_PKT3_S3_S6_S3_S6_S3_S6_PS1_21rocsparse_index_base_S8_S8_S8_bb,"axG",@progbits,_ZN9rocsparseL32csrgemm_symbolic_fill_wf_per_rowILj256ELj16ELj32ELj137EiiEEvT4_S1_PKS1_S3_PKT3_S3_S6_S3_S6_S3_S6_PS1_21rocsparse_index_base_S8_S8_S8_bb,comdat
.Lfunc_end5:
	.size	_ZN9rocsparseL32csrgemm_symbolic_fill_wf_per_rowILj256ELj16ELj32ELj137EiiEEvT4_S1_PKS1_S3_PKT3_S3_S6_S3_S6_S3_S6_PS1_21rocsparse_index_base_S8_S8_S8_bb, .Lfunc_end5-_ZN9rocsparseL32csrgemm_symbolic_fill_wf_per_rowILj256ELj16ELj32ELj137EiiEEvT4_S1_PKS1_S3_PKT3_S3_S6_S3_S6_S3_S6_PS1_21rocsparse_index_base_S8_S8_S8_bb
                                        ; -- End function
	.set _ZN9rocsparseL32csrgemm_symbolic_fill_wf_per_rowILj256ELj16ELj32ELj137EiiEEvT4_S1_PKS1_S3_PKT3_S3_S6_S3_S6_S3_S6_PS1_21rocsparse_index_base_S8_S8_S8_bb.num_vgpr, 20
	.set _ZN9rocsparseL32csrgemm_symbolic_fill_wf_per_rowILj256ELj16ELj32ELj137EiiEEvT4_S1_PKS1_S3_PKT3_S3_S6_S3_S6_S3_S6_PS1_21rocsparse_index_base_S8_S8_S8_bb.num_agpr, 0
	.set _ZN9rocsparseL32csrgemm_symbolic_fill_wf_per_rowILj256ELj16ELj32ELj137EiiEEvT4_S1_PKS1_S3_PKT3_S3_S6_S3_S6_S3_S6_PS1_21rocsparse_index_base_S8_S8_S8_bb.numbered_sgpr, 40
	.set _ZN9rocsparseL32csrgemm_symbolic_fill_wf_per_rowILj256ELj16ELj32ELj137EiiEEvT4_S1_PKS1_S3_PKT3_S3_S6_S3_S6_S3_S6_PS1_21rocsparse_index_base_S8_S8_S8_bb.num_named_barrier, 0
	.set _ZN9rocsparseL32csrgemm_symbolic_fill_wf_per_rowILj256ELj16ELj32ELj137EiiEEvT4_S1_PKS1_S3_PKT3_S3_S6_S3_S6_S3_S6_PS1_21rocsparse_index_base_S8_S8_S8_bb.private_seg_size, 0
	.set _ZN9rocsparseL32csrgemm_symbolic_fill_wf_per_rowILj256ELj16ELj32ELj137EiiEEvT4_S1_PKS1_S3_PKT3_S3_S6_S3_S6_S3_S6_PS1_21rocsparse_index_base_S8_S8_S8_bb.uses_vcc, 1
	.set _ZN9rocsparseL32csrgemm_symbolic_fill_wf_per_rowILj256ELj16ELj32ELj137EiiEEvT4_S1_PKS1_S3_PKT3_S3_S6_S3_S6_S3_S6_PS1_21rocsparse_index_base_S8_S8_S8_bb.uses_flat_scratch, 0
	.set _ZN9rocsparseL32csrgemm_symbolic_fill_wf_per_rowILj256ELj16ELj32ELj137EiiEEvT4_S1_PKS1_S3_PKT3_S3_S6_S3_S6_S3_S6_PS1_21rocsparse_index_base_S8_S8_S8_bb.has_dyn_sized_stack, 0
	.set _ZN9rocsparseL32csrgemm_symbolic_fill_wf_per_rowILj256ELj16ELj32ELj137EiiEEvT4_S1_PKS1_S3_PKT3_S3_S6_S3_S6_S3_S6_PS1_21rocsparse_index_base_S8_S8_S8_bb.has_recursion, 0
	.set _ZN9rocsparseL32csrgemm_symbolic_fill_wf_per_rowILj256ELj16ELj32ELj137EiiEEvT4_S1_PKS1_S3_PKT3_S3_S6_S3_S6_S3_S6_PS1_21rocsparse_index_base_S8_S8_S8_bb.has_indirect_call, 0
	.section	.AMDGPU.csdata,"",@progbits
; Kernel info:
; codeLenInByte = 1512
; TotalNumSgprs: 44
; NumVgprs: 20
; ScratchSize: 0
; MemoryBound: 0
; FloatMode: 240
; IeeeMode: 1
; LDSByteSize: 2048 bytes/workgroup (compile time only)
; SGPRBlocks: 5
; VGPRBlocks: 4
; NumSGPRsForWavesPerEU: 44
; NumVGPRsForWavesPerEU: 20
; Occupancy: 10
; WaveLimiterHint : 1
; COMPUTE_PGM_RSRC2:SCRATCH_EN: 0
; COMPUTE_PGM_RSRC2:USER_SGPR: 6
; COMPUTE_PGM_RSRC2:TRAP_HANDLER: 0
; COMPUTE_PGM_RSRC2:TGID_X_EN: 1
; COMPUTE_PGM_RSRC2:TGID_Y_EN: 0
; COMPUTE_PGM_RSRC2:TGID_Z_EN: 0
; COMPUTE_PGM_RSRC2:TIDIG_COMP_CNT: 0
	.section	.text._ZN9rocsparseL35csrgemm_symbolic_fill_block_per_rowILj128ELj16ELj256ELj137ELj32EiiEEvT5_PKS1_S3_PKT4_S3_S6_S3_S6_S3_S6_PS1_21rocsparse_index_base_S8_S8_S8_bb,"axG",@progbits,_ZN9rocsparseL35csrgemm_symbolic_fill_block_per_rowILj128ELj16ELj256ELj137ELj32EiiEEvT5_PKS1_S3_PKT4_S3_S6_S3_S6_S3_S6_PS1_21rocsparse_index_base_S8_S8_S8_bb,comdat
	.globl	_ZN9rocsparseL35csrgemm_symbolic_fill_block_per_rowILj128ELj16ELj256ELj137ELj32EiiEEvT5_PKS1_S3_PKT4_S3_S6_S3_S6_S3_S6_PS1_21rocsparse_index_base_S8_S8_S8_bb ; -- Begin function _ZN9rocsparseL35csrgemm_symbolic_fill_block_per_rowILj128ELj16ELj256ELj137ELj32EiiEEvT5_PKS1_S3_PKT4_S3_S6_S3_S6_S3_S6_PS1_21rocsparse_index_base_S8_S8_S8_bb
	.p2align	8
	.type	_ZN9rocsparseL35csrgemm_symbolic_fill_block_per_rowILj128ELj16ELj256ELj137ELj32EiiEEvT5_PKS1_S3_PKT4_S3_S6_S3_S6_S3_S6_PS1_21rocsparse_index_base_S8_S8_S8_bb,@function
_ZN9rocsparseL35csrgemm_symbolic_fill_block_per_rowILj128ELj16ELj256ELj137ELj32EiiEEvT5_PKS1_S3_PKT4_S3_S6_S3_S6_S3_S6_PS1_21rocsparse_index_base_S8_S8_S8_bb: ; @_ZN9rocsparseL35csrgemm_symbolic_fill_block_per_rowILj128ELj16ELj256ELj137ELj32EiiEEvT5_PKS1_S3_PKT4_S3_S6_S3_S6_S3_S6_PS1_21rocsparse_index_base_S8_S8_S8_bb
; %bb.0:
	s_load_dwordx4 s[24:27], s[4:5], 0x48
	s_load_dwordx8 s[8:15], s[4:5], 0x28
	s_load_dword s33, s[4:5], 0x0
	s_load_dwordx8 s[16:23], s[4:5], 0x8
	s_movk_i32 s0, 0x100
	v_cmp_gt_u32_e64 s[0:1], s0, v0
	v_lshl_add_u32 v4, v0, 2, 0
	s_and_saveexec_b64 s[2:3], s[0:1]
	s_cbranch_execz .LBB6_3
; %bb.1:
	v_or_b32_e32 v1, 0xffffff80, v0
	v_lshl_add_u32 v2, v0, 2, 0
	s_mov_b64 s[28:29], 0
	s_waitcnt lgkmcnt(0)
	v_mov_b32_e32 v3, s33
.LBB6_2:                                ; =>This Inner Loop Header: Depth=1
	v_add_co_u32_e32 v1, vcc, 0x80, v1
	s_xor_b64 s[30:31], vcc, -1
	s_and_b64 s[30:31], exec, s[30:31]
	ds_write_b32 v2, v3
	s_or_b64 s[28:29], s[30:31], s[28:29]
	v_add_u32_e32 v2, 0x200, v2
	s_andn2_b64 exec, exec, s[28:29]
	s_cbranch_execnz .LBB6_2
.LBB6_3:
	s_or_b64 exec, exec, s[2:3]
	s_load_dword s42, s[4:5], 0x68
	s_waitcnt lgkmcnt(0)
	s_barrier
	s_load_dword s7, s[16:17], 0x0
	s_load_dwordx4 s[28:31], s[4:5], 0x58
	s_bitcmp1_b32 s42, 0
	s_cselect_b64 s[2:3], -1, 0
	s_mov_b32 s5, 0
	s_waitcnt lgkmcnt(0)
	s_add_i32 s4, s7, s6
	s_lshl_b64 s[4:5], s[4:5], 2
	s_add_u32 s4, s18, s4
	s_addc_u32 s5, s19, s5
	s_load_dword s16, s[4:5], 0x0
	s_and_b64 vcc, exec, s[2:3]
	s_cbranch_vccz .LBB6_19
; %bb.4:
	s_waitcnt lgkmcnt(0)
	s_ashr_i32 s17, s16, 31
	s_lshl_b64 s[2:3], s[16:17], 2
	s_add_u32 s2, s20, s2
	s_addc_u32 s3, s21, s3
	s_load_dwordx2 s[4:5], s[2:3], 0x0
	v_lshrrev_b32_e32 v1, 4, v0
	v_subrev_u32_e32 v1, s28, v1
	s_waitcnt lgkmcnt(0)
	s_sub_i32 s17, s5, s28
	v_add_u32_e32 v1, s4, v1
	v_cmp_gt_i32_e32 vcc, s17, v1
	s_and_saveexec_b64 s[2:3], vcc
	s_cbranch_execz .LBB6_18
; %bb.5:
	v_and_b32_e32 v2, 15, v0
	v_subrev_u32_e32 v5, s29, v2
	s_mov_b64 s[4:5], 0
	v_mov_b32_e32 v6, s23
	v_mov_b32_e32 v7, s9
	s_movk_i32 s9, 0x89
	s_branch .LBB6_7
.LBB6_6:                                ;   in Loop: Header=BB6_7 Depth=1
	s_or_b64 exec, exec, s[6:7]
	v_add_u32_e32 v1, 8, v1
	v_cmp_le_i32_e32 vcc, s17, v1
	s_or_b64 s[4:5], vcc, s[4:5]
	s_andn2_b64 exec, exec, s[4:5]
	s_cbranch_execz .LBB6_18
.LBB6_7:                                ; =>This Loop Header: Depth=1
                                        ;     Child Loop BB6_10 Depth 2
                                        ;       Child Loop BB6_13 Depth 3
	v_ashrrev_i32_e32 v2, 31, v1
	v_lshlrev_b64 v[2:3], 2, v[1:2]
	v_add_co_u32_e32 v2, vcc, s22, v2
	v_addc_co_u32_e32 v3, vcc, v6, v3, vcc
	global_load_dword v2, v[2:3], off
	s_waitcnt vmcnt(0)
	v_subrev_u32_e32 v2, s28, v2
	v_ashrrev_i32_e32 v3, 31, v2
	v_lshlrev_b64 v[2:3], 2, v[2:3]
	v_add_co_u32_e32 v2, vcc, s8, v2
	v_addc_co_u32_e32 v3, vcc, v7, v3, vcc
	global_load_dwordx2 v[2:3], v[2:3], off
	s_waitcnt vmcnt(0)
	v_subrev_u32_e32 v8, s29, v3
	v_add_u32_e32 v2, v2, v5
	v_cmp_lt_i32_e32 vcc, v2, v8
	s_and_saveexec_b64 s[6:7], vcc
	s_cbranch_execz .LBB6_6
; %bb.8:                                ;   in Loop: Header=BB6_7 Depth=1
	s_mov_b64 s[18:19], 0
	s_branch .LBB6_10
.LBB6_9:                                ;   in Loop: Header=BB6_10 Depth=2
	s_or_b64 exec, exec, s[20:21]
	v_add_u32_e32 v2, 16, v2
	v_cmp_ge_i32_e32 vcc, v2, v8
	s_or_b64 s[18:19], vcc, s[18:19]
	s_andn2_b64 exec, exec, s[18:19]
	s_cbranch_execz .LBB6_6
.LBB6_10:                               ;   Parent Loop BB6_7 Depth=1
                                        ; =>  This Loop Header: Depth=2
                                        ;       Child Loop BB6_13 Depth 3
	v_ashrrev_i32_e32 v3, 31, v2
	v_lshlrev_b64 v[9:10], 2, v[2:3]
	v_mov_b32_e32 v3, s11
	v_add_co_u32_e32 v9, vcc, s10, v9
	v_addc_co_u32_e32 v10, vcc, v3, v10, vcc
	global_load_dword v3, v[9:10], off
	s_mov_b64 s[20:21], 0
                                        ; implicit-def: $sgpr34_sgpr35
	s_waitcnt vmcnt(0)
	v_subrev_u32_e32 v3, s29, v3
	v_mul_lo_u32 v9, v3, s9
	v_and_b32_e32 v9, 0xff, v9
	s_branch .LBB6_13
.LBB6_11:                               ;   in Loop: Header=BB6_13 Depth=3
	s_or_b64 exec, exec, s[38:39]
	s_andn2_b64 s[34:35], s[34:35], exec
	s_and_b64 s[38:39], s[40:41], exec
	s_or_b64 s[34:35], s[34:35], s[38:39]
.LBB6_12:                               ;   in Loop: Header=BB6_13 Depth=3
	s_or_b64 exec, exec, s[36:37]
	s_xor_b64 s[36:37], s[34:35], -1
	s_and_b64 s[36:37], exec, s[36:37]
	s_or_b64 s[20:21], s[36:37], s[20:21]
	s_andn2_b64 exec, exec, s[20:21]
	s_cbranch_execz .LBB6_9
.LBB6_13:                               ;   Parent Loop BB6_7 Depth=1
                                        ;     Parent Loop BB6_10 Depth=2
                                        ; =>    This Inner Loop Header: Depth=3
	v_lshl_add_u32 v10, v9, 2, 0
	ds_read_b32 v11, v10
	s_andn2_b64 s[34:35], s[34:35], exec
	s_waitcnt lgkmcnt(0)
	v_cmp_ne_u32_e32 vcc, v11, v3
	s_and_saveexec_b64 s[36:37], vcc
	s_cbranch_execz .LBB6_12
; %bb.14:                               ;   in Loop: Header=BB6_13 Depth=3
	v_cmp_ne_u32_e32 vcc, s33, v11
	s_and_saveexec_b64 s[38:39], vcc
	s_xor_b64 s[38:39], exec, s[38:39]
; %bb.15:                               ;   in Loop: Header=BB6_13 Depth=3
	v_add_u32_e32 v9, 1, v9
	v_and_b32_e32 v9, 0xff, v9
                                        ; implicit-def: $vgpr10
; %bb.16:                               ;   in Loop: Header=BB6_13 Depth=3
	s_or_saveexec_b64 s[38:39], s[38:39]
	s_mov_b64 s[40:41], -1
	s_xor_b64 exec, exec, s[38:39]
	s_cbranch_execz .LBB6_11
; %bb.17:                               ;   in Loop: Header=BB6_13 Depth=3
	v_mov_b32_e32 v11, s33
	ds_cmpst_rtn_b32 v10, v10, v11, v3
	s_waitcnt lgkmcnt(0)
	v_cmp_ne_u32_e32 vcc, s33, v10
	s_orn2_b64 s[40:41], vcc, exec
	s_branch .LBB6_11
.LBB6_18:
	s_or_b64 exec, exec, s[2:3]
.LBB6_19:
	s_bfe_u32 s2, s42, 0x10008
	s_cmp_eq_u32 s2, 0
	s_cbranch_scc1 .LBB6_32
; %bb.20:
	s_waitcnt lgkmcnt(0)
	s_ashr_i32 s17, s16, 31
	s_lshl_b64 s[2:3], s[16:17], 2
	s_add_u32 s2, s12, s2
	s_addc_u32 s3, s13, s3
	s_load_dwordx2 s[4:5], s[2:3], 0x0
	v_subrev_u32_e32 v1, s31, v0
	s_waitcnt lgkmcnt(0)
	s_sub_i32 s17, s5, s31
	v_add_u32_e32 v1, s4, v1
	v_cmp_gt_i32_e32 vcc, s17, v1
	s_and_saveexec_b64 s[2:3], vcc
	s_cbranch_execz .LBB6_31
; %bb.21:
	s_mov_b64 s[4:5], 0
	v_mov_b32_e32 v3, s15
	s_movk_i32 s15, 0x89
	s_branch .LBB6_23
.LBB6_22:                               ;   in Loop: Header=BB6_23 Depth=1
	s_or_b64 exec, exec, s[6:7]
	v_add_u32_e32 v1, 0x80, v1
	v_cmp_le_i32_e32 vcc, s17, v1
	s_or_b64 s[4:5], vcc, s[4:5]
	s_andn2_b64 exec, exec, s[4:5]
	s_cbranch_execz .LBB6_31
.LBB6_23:                               ; =>This Loop Header: Depth=1
                                        ;     Child Loop BB6_26 Depth 2
	v_ashrrev_i32_e32 v2, 31, v1
	v_lshlrev_b64 v[5:6], 2, v[1:2]
	s_mov_b64 s[6:7], 0
	v_add_co_u32_e32 v5, vcc, s14, v5
	v_addc_co_u32_e32 v6, vcc, v3, v6, vcc
	global_load_dword v2, v[5:6], off
                                        ; implicit-def: $sgpr8_sgpr9
	s_waitcnt vmcnt(0)
	v_subrev_u32_e32 v2, s31, v2
	v_mul_lo_u32 v5, v2, s15
	v_and_b32_e32 v5, 0xff, v5
	s_branch .LBB6_26
.LBB6_24:                               ;   in Loop: Header=BB6_26 Depth=2
	s_or_b64 exec, exec, s[12:13]
	s_andn2_b64 s[8:9], s[8:9], exec
	s_and_b64 s[12:13], s[18:19], exec
	s_or_b64 s[8:9], s[8:9], s[12:13]
.LBB6_25:                               ;   in Loop: Header=BB6_26 Depth=2
	s_or_b64 exec, exec, s[10:11]
	s_xor_b64 s[10:11], s[8:9], -1
	s_and_b64 s[10:11], exec, s[10:11]
	s_or_b64 s[6:7], s[10:11], s[6:7]
	s_andn2_b64 exec, exec, s[6:7]
	s_cbranch_execz .LBB6_22
.LBB6_26:                               ;   Parent Loop BB6_23 Depth=1
                                        ; =>  This Inner Loop Header: Depth=2
	v_lshl_add_u32 v6, v5, 2, 0
	ds_read_b32 v7, v6
	s_andn2_b64 s[8:9], s[8:9], exec
	s_waitcnt lgkmcnt(0)
	v_cmp_ne_u32_e32 vcc, v7, v2
	s_and_saveexec_b64 s[10:11], vcc
	s_cbranch_execz .LBB6_25
; %bb.27:                               ;   in Loop: Header=BB6_26 Depth=2
	v_cmp_ne_u32_e32 vcc, s33, v7
	s_and_saveexec_b64 s[12:13], vcc
	s_xor_b64 s[12:13], exec, s[12:13]
; %bb.28:                               ;   in Loop: Header=BB6_26 Depth=2
	v_add_u32_e32 v5, 1, v5
	v_and_b32_e32 v5, 0xff, v5
                                        ; implicit-def: $vgpr6
; %bb.29:                               ;   in Loop: Header=BB6_26 Depth=2
	s_or_saveexec_b64 s[12:13], s[12:13]
	s_mov_b64 s[18:19], -1
	s_xor_b64 exec, exec, s[12:13]
	s_cbranch_execz .LBB6_24
; %bb.30:                               ;   in Loop: Header=BB6_26 Depth=2
	v_mov_b32_e32 v7, s33
	ds_cmpst_rtn_b32 v6, v6, v7, v2
	s_waitcnt lgkmcnt(0)
	v_cmp_ne_u32_e32 vcc, s33, v6
	s_orn2_b64 s[18:19], vcc, exec
	s_branch .LBB6_24
.LBB6_31:
	s_or_b64 exec, exec, s[2:3]
.LBB6_32:
	s_waitcnt lgkmcnt(0)
	s_barrier
	s_and_saveexec_b64 s[8:9], s[0:1]
	s_cbranch_execz .LBB6_45
; %bb.33:
	v_mbcnt_lo_u32_b32 v1, -1, 0
	v_mbcnt_hi_u32_b32 v1, -1, v1
	v_sub_u32_e32 v1, 63, v1
	v_lshrrev_b32_e32 v5, 3, v0
	v_lshrrev_b64 v[1:2], v1, -1
	v_and_b32_e32 v5, 12, v5
	s_movk_i32 s0, 0x7f
	s_movk_i32 s6, 0x5f
	v_mov_b32_e32 v3, 0
	v_add_u32_e32 v5, 0, v5
	v_cmp_eq_u32_e64 s[0:1], s0, v0
	v_cmp_lt_u32_e64 s[2:3], 31, v0
	v_cmp_lt_u32_e64 s[4:5], 63, v0
	;; [unrolled: 1-line block ×3, first 2 shown]
	v_or_b32_e32 v6, 0xffffff80, v0
	s_mov_b64 s[10:11], 0
	v_mov_b32_e32 v7, 0
	s_branch .LBB6_35
.LBB6_34:                               ;   in Loop: Header=BB6_35 Depth=1
	s_or_b64 exec, exec, s[12:13]
	s_waitcnt lgkmcnt(0)
	s_barrier
	ds_read_b32 v8, v3 offset:1036
	v_add_co_u32_e32 v6, vcc, 0x80, v6
	s_xor_b64 s[12:13], vcc, -1
	s_and_b64 s[12:13], exec, s[12:13]
	s_waitcnt lgkmcnt(0)
	v_add_u32_e32 v7, v8, v7
	s_or_b64 s[10:11], s[12:13], s[10:11]
	v_add_u32_e32 v4, 0x200, v4
	s_andn2_b64 exec, exec, s[10:11]
	s_cbranch_execz .LBB6_45
.LBB6_35:                               ; =>This Inner Loop Header: Depth=1
	ds_read_b32 v8, v4
	s_waitcnt lgkmcnt(0)
	s_barrier
	v_cmp_gt_i32_e32 vcc, s33, v8
	v_and_b32_e32 v10, vcc_lo, v1
	s_bcnt1_i32_b64 s12, vcc
	v_and_b32_e32 v9, vcc_hi, v2
	v_bcnt_u32_b32 v10, v10, 0
	v_bcnt_u32_b32 v9, v9, v10
	v_mov_b32_e32 v10, s12
	ds_write_b32 v5, v10 offset:1024
	s_waitcnt lgkmcnt(0)
	s_barrier
	s_and_saveexec_b64 s[12:13], s[2:3]
	s_cbranch_execnz .LBB6_40
; %bb.36:                               ;   in Loop: Header=BB6_35 Depth=1
	s_or_b64 exec, exec, s[12:13]
	s_and_saveexec_b64 s[12:13], s[4:5]
	s_cbranch_execnz .LBB6_41
.LBB6_37:                               ;   in Loop: Header=BB6_35 Depth=1
	s_or_b64 exec, exec, s[12:13]
	s_and_saveexec_b64 s[12:13], s[6:7]
	s_cbranch_execnz .LBB6_42
.LBB6_38:                               ;   in Loop: Header=BB6_35 Depth=1
	s_or_b64 exec, exec, s[12:13]
	s_and_saveexec_b64 s[12:13], vcc
	s_cbranch_execnz .LBB6_43
.LBB6_39:                               ;   in Loop: Header=BB6_35 Depth=1
	s_or_b64 exec, exec, s[12:13]
	s_and_saveexec_b64 s[12:13], s[0:1]
	s_cbranch_execz .LBB6_34
	s_branch .LBB6_44
.LBB6_40:                               ;   in Loop: Header=BB6_35 Depth=1
	ds_read_b32 v10, v3 offset:1024
	s_waitcnt lgkmcnt(0)
	v_add_u32_e32 v9, v10, v9
	s_or_b64 exec, exec, s[12:13]
	s_and_saveexec_b64 s[12:13], s[4:5]
	s_cbranch_execz .LBB6_37
.LBB6_41:                               ;   in Loop: Header=BB6_35 Depth=1
	ds_read_b32 v10, v3 offset:1028
	s_waitcnt lgkmcnt(0)
	v_add_u32_e32 v9, v10, v9
	s_or_b64 exec, exec, s[12:13]
	s_and_saveexec_b64 s[12:13], s[6:7]
	s_cbranch_execz .LBB6_38
.LBB6_42:                               ;   in Loop: Header=BB6_35 Depth=1
	ds_read_b32 v10, v3 offset:1032
	s_waitcnt lgkmcnt(0)
	v_add_u32_e32 v9, v10, v9
	s_or_b64 exec, exec, s[12:13]
	s_and_saveexec_b64 s[12:13], vcc
	s_cbranch_execz .LBB6_39
.LBB6_43:                               ;   in Loop: Header=BB6_35 Depth=1
	v_lshlrev_b32_e32 v10, 2, v7
	v_add_u32_e32 v10, 0, v10
	v_lshlrev_b32_e32 v11, 2, v9
	v_add3_u32 v10, v10, v11, -4
	ds_write_b32 v10, v8
	s_or_b64 exec, exec, s[12:13]
	s_and_saveexec_b64 s[12:13], s[0:1]
	s_cbranch_execz .LBB6_34
.LBB6_44:                               ;   in Loop: Header=BB6_35 Depth=1
	ds_write_b32 v3, v9 offset:1036
	s_branch .LBB6_34
.LBB6_45:
	s_or_b64 exec, exec, s[8:9]
	s_ashr_i32 s17, s16, 31
	s_lshl_b64 s[0:1], s[16:17], 2
	s_add_u32 s2, s24, s0
	s_addc_u32 s3, s25, s1
	s_load_dwordx2 s[0:1], s[2:3], 0x0
	s_waitcnt lgkmcnt(0)
	s_sub_i32 s6, s1, s0
	v_cmp_gt_i32_e32 vcc, s6, v0
	s_and_saveexec_b64 s[2:3], vcc
	s_cbranch_execz .LBB6_55
; %bb.46:
	s_sub_i32 s7, s0, s30
	s_and_b32 s8, s6, 7
	s_sub_i32 s0, s0, s1
	s_cmp_lt_u32 s0, -7
	s_cselect_b64 s[0:1], -1, 0
	s_and_b32 s9, s6, -8
	s_cmp_lg_u32 s8, 0
	v_cndmask_b32_e64 v1, 0, 1, s[0:1]
	s_cselect_b64 s[2:3], -1, 0
	v_cmp_ne_u32_e64 s[0:1], 1, v1
	v_cndmask_b32_e64 v1, 0, 1, s[2:3]
	s_mov_b64 s[4:5], 0
	v_cmp_ne_u32_e64 s[2:3], 1, v1
	v_mov_b32_e32 v3, s27
	s_branch .LBB6_48
.LBB6_47:                               ;   in Loop: Header=BB6_48 Depth=1
	s_waitcnt lgkmcnt(0)
	v_add_u32_e32 v4, s30, v2
	v_ashrrev_i32_e32 v2, 31, v1
	v_lshlrev_b64 v[1:2], 2, v[1:2]
	v_add_u32_e32 v0, 0x80, v0
	v_add_co_u32_e32 v1, vcc, s26, v1
	v_addc_co_u32_e32 v2, vcc, v3, v2, vcc
	v_cmp_le_i32_e32 vcc, s6, v0
	s_or_b64 s[4:5], vcc, s[4:5]
	global_store_dword v[1:2], v4, off
	s_andn2_b64 exec, exec, s[4:5]
	s_cbranch_execz .LBB6_55
.LBB6_48:                               ; =>This Loop Header: Depth=1
                                        ;     Child Loop BB6_50 Depth 2
                                        ;     Child Loop BB6_54 Depth 2
	v_lshl_add_u32 v1, v0, 2, 0
	ds_read_b32 v2, v1
	s_and_b64 vcc, exec, s[0:1]
	v_mov_b32_e32 v1, s7
	s_mov_b32 s10, 0
	s_cbranch_vccnz .LBB6_52
; %bb.49:                               ;   in Loop: Header=BB6_48 Depth=1
	s_mov_b32 s11, 0
	v_mov_b32_e32 v1, s7
.LBB6_50:                               ;   Parent Loop BB6_48 Depth=1
                                        ; =>  This Inner Loop Header: Depth=2
	v_mov_b32_e32 v10, s11
	ds_read2_b32 v[4:5], v10 offset1:1
	ds_read2_b32 v[6:7], v10 offset0:2 offset1:3
	ds_read2_b32 v[8:9], v10 offset0:4 offset1:5
	;; [unrolled: 1-line block ×3, first 2 shown]
	s_add_i32 s10, s10, 8
	s_waitcnt lgkmcnt(3)
	v_cmp_gt_i32_e32 vcc, v2, v4
	v_cndmask_b32_e64 v4, 0, 1, vcc
	s_waitcnt lgkmcnt(2)
	v_cmp_gt_i32_e32 vcc, v2, v6
	v_cndmask_b32_e64 v6, 0, 1, vcc
	;; [unrolled: 3-line block ×4, first 2 shown]
	v_cmp_gt_i32_e32 vcc, v2, v5
	v_addc_co_u32_e32 v1, vcc, v1, v4, vcc
	v_cmp_gt_i32_e32 vcc, v2, v7
	v_addc_co_u32_e32 v1, vcc, v1, v6, vcc
	;; [unrolled: 2-line block ×3, first 2 shown]
	s_add_i32 s11, s11, 32
	v_cmp_gt_i32_e32 vcc, v2, v11
	s_cmp_eq_u32 s9, s10
	v_addc_co_u32_e32 v1, vcc, v1, v10, vcc
	s_cbranch_scc0 .LBB6_50
; %bb.51:                               ;   in Loop: Header=BB6_48 Depth=1
	s_mov_b32 s10, s9
.LBB6_52:                               ;   in Loop: Header=BB6_48 Depth=1
	s_and_b64 vcc, exec, s[2:3]
	s_cbranch_vccnz .LBB6_47
; %bb.53:                               ;   in Loop: Header=BB6_48 Depth=1
	s_lshl_b32 s10, s10, 2
	s_add_i32 s10, s10, 0
	s_mov_b32 s11, s8
.LBB6_54:                               ;   Parent Loop BB6_48 Depth=1
                                        ; =>  This Inner Loop Header: Depth=2
	v_mov_b32_e32 v4, s10
	ds_read_b32 v4, v4
	s_add_i32 s10, s10, 4
	s_add_i32 s11, s11, -1
	s_cmp_lg_u32 s11, 0
	s_waitcnt lgkmcnt(0)
	v_cmp_gt_i32_e32 vcc, v2, v4
	v_addc_co_u32_e32 v1, vcc, 0, v1, vcc
	s_cbranch_scc1 .LBB6_54
	s_branch .LBB6_47
.LBB6_55:
	s_endpgm
	.section	.rodata,"a",@progbits
	.p2align	6, 0x0
	.amdhsa_kernel _ZN9rocsparseL35csrgemm_symbolic_fill_block_per_rowILj128ELj16ELj256ELj137ELj32EiiEEvT5_PKS1_S3_PKT4_S3_S6_S3_S6_S3_S6_PS1_21rocsparse_index_base_S8_S8_S8_bb
		.amdhsa_group_segment_fixed_size 0
		.amdhsa_private_segment_fixed_size 0
		.amdhsa_kernarg_size 108
		.amdhsa_user_sgpr_count 6
		.amdhsa_user_sgpr_private_segment_buffer 1
		.amdhsa_user_sgpr_dispatch_ptr 0
		.amdhsa_user_sgpr_queue_ptr 0
		.amdhsa_user_sgpr_kernarg_segment_ptr 1
		.amdhsa_user_sgpr_dispatch_id 0
		.amdhsa_user_sgpr_flat_scratch_init 0
		.amdhsa_user_sgpr_private_segment_size 0
		.amdhsa_uses_dynamic_stack 0
		.amdhsa_system_sgpr_private_segment_wavefront_offset 0
		.amdhsa_system_sgpr_workgroup_id_x 1
		.amdhsa_system_sgpr_workgroup_id_y 0
		.amdhsa_system_sgpr_workgroup_id_z 0
		.amdhsa_system_sgpr_workgroup_info 0
		.amdhsa_system_vgpr_workitem_id 0
		.amdhsa_next_free_vgpr 12
		.amdhsa_next_free_sgpr 43
		.amdhsa_reserve_vcc 1
		.amdhsa_reserve_flat_scratch 0
		.amdhsa_float_round_mode_32 0
		.amdhsa_float_round_mode_16_64 0
		.amdhsa_float_denorm_mode_32 3
		.amdhsa_float_denorm_mode_16_64 3
		.amdhsa_dx10_clamp 1
		.amdhsa_ieee_mode 1
		.amdhsa_fp16_overflow 0
		.amdhsa_exception_fp_ieee_invalid_op 0
		.amdhsa_exception_fp_denorm_src 0
		.amdhsa_exception_fp_ieee_div_zero 0
		.amdhsa_exception_fp_ieee_overflow 0
		.amdhsa_exception_fp_ieee_underflow 0
		.amdhsa_exception_fp_ieee_inexact 0
		.amdhsa_exception_int_div_zero 0
	.end_amdhsa_kernel
	.section	.text._ZN9rocsparseL35csrgemm_symbolic_fill_block_per_rowILj128ELj16ELj256ELj137ELj32EiiEEvT5_PKS1_S3_PKT4_S3_S6_S3_S6_S3_S6_PS1_21rocsparse_index_base_S8_S8_S8_bb,"axG",@progbits,_ZN9rocsparseL35csrgemm_symbolic_fill_block_per_rowILj128ELj16ELj256ELj137ELj32EiiEEvT5_PKS1_S3_PKT4_S3_S6_S3_S6_S3_S6_PS1_21rocsparse_index_base_S8_S8_S8_bb,comdat
.Lfunc_end6:
	.size	_ZN9rocsparseL35csrgemm_symbolic_fill_block_per_rowILj128ELj16ELj256ELj137ELj32EiiEEvT5_PKS1_S3_PKT4_S3_S6_S3_S6_S3_S6_PS1_21rocsparse_index_base_S8_S8_S8_bb, .Lfunc_end6-_ZN9rocsparseL35csrgemm_symbolic_fill_block_per_rowILj128ELj16ELj256ELj137ELj32EiiEEvT5_PKS1_S3_PKT4_S3_S6_S3_S6_S3_S6_PS1_21rocsparse_index_base_S8_S8_S8_bb
                                        ; -- End function
	.set _ZN9rocsparseL35csrgemm_symbolic_fill_block_per_rowILj128ELj16ELj256ELj137ELj32EiiEEvT5_PKS1_S3_PKT4_S3_S6_S3_S6_S3_S6_PS1_21rocsparse_index_base_S8_S8_S8_bb.num_vgpr, 12
	.set _ZN9rocsparseL35csrgemm_symbolic_fill_block_per_rowILj128ELj16ELj256ELj137ELj32EiiEEvT5_PKS1_S3_PKT4_S3_S6_S3_S6_S3_S6_PS1_21rocsparse_index_base_S8_S8_S8_bb.num_agpr, 0
	.set _ZN9rocsparseL35csrgemm_symbolic_fill_block_per_rowILj128ELj16ELj256ELj137ELj32EiiEEvT5_PKS1_S3_PKT4_S3_S6_S3_S6_S3_S6_PS1_21rocsparse_index_base_S8_S8_S8_bb.numbered_sgpr, 43
	.set _ZN9rocsparseL35csrgemm_symbolic_fill_block_per_rowILj128ELj16ELj256ELj137ELj32EiiEEvT5_PKS1_S3_PKT4_S3_S6_S3_S6_S3_S6_PS1_21rocsparse_index_base_S8_S8_S8_bb.num_named_barrier, 0
	.set _ZN9rocsparseL35csrgemm_symbolic_fill_block_per_rowILj128ELj16ELj256ELj137ELj32EiiEEvT5_PKS1_S3_PKT4_S3_S6_S3_S6_S3_S6_PS1_21rocsparse_index_base_S8_S8_S8_bb.private_seg_size, 0
	.set _ZN9rocsparseL35csrgemm_symbolic_fill_block_per_rowILj128ELj16ELj256ELj137ELj32EiiEEvT5_PKS1_S3_PKT4_S3_S6_S3_S6_S3_S6_PS1_21rocsparse_index_base_S8_S8_S8_bb.uses_vcc, 1
	.set _ZN9rocsparseL35csrgemm_symbolic_fill_block_per_rowILj128ELj16ELj256ELj137ELj32EiiEEvT5_PKS1_S3_PKT4_S3_S6_S3_S6_S3_S6_PS1_21rocsparse_index_base_S8_S8_S8_bb.uses_flat_scratch, 0
	.set _ZN9rocsparseL35csrgemm_symbolic_fill_block_per_rowILj128ELj16ELj256ELj137ELj32EiiEEvT5_PKS1_S3_PKT4_S3_S6_S3_S6_S3_S6_PS1_21rocsparse_index_base_S8_S8_S8_bb.has_dyn_sized_stack, 0
	.set _ZN9rocsparseL35csrgemm_symbolic_fill_block_per_rowILj128ELj16ELj256ELj137ELj32EiiEEvT5_PKS1_S3_PKT4_S3_S6_S3_S6_S3_S6_PS1_21rocsparse_index_base_S8_S8_S8_bb.has_recursion, 0
	.set _ZN9rocsparseL35csrgemm_symbolic_fill_block_per_rowILj128ELj16ELj256ELj137ELj32EiiEEvT5_PKS1_S3_PKT4_S3_S6_S3_S6_S3_S6_PS1_21rocsparse_index_base_S8_S8_S8_bb.has_indirect_call, 0
	.section	.AMDGPU.csdata,"",@progbits
; Kernel info:
; codeLenInByte = 1876
; TotalNumSgprs: 47
; NumVgprs: 12
; ScratchSize: 0
; MemoryBound: 0
; FloatMode: 240
; IeeeMode: 1
; LDSByteSize: 0 bytes/workgroup (compile time only)
; SGPRBlocks: 5
; VGPRBlocks: 2
; NumSGPRsForWavesPerEU: 47
; NumVGPRsForWavesPerEU: 12
; Occupancy: 10
; WaveLimiterHint : 1
; COMPUTE_PGM_RSRC2:SCRATCH_EN: 0
; COMPUTE_PGM_RSRC2:USER_SGPR: 6
; COMPUTE_PGM_RSRC2:TRAP_HANDLER: 0
; COMPUTE_PGM_RSRC2:TGID_X_EN: 1
; COMPUTE_PGM_RSRC2:TGID_Y_EN: 0
; COMPUTE_PGM_RSRC2:TGID_Z_EN: 0
; COMPUTE_PGM_RSRC2:TIDIG_COMP_CNT: 0
	.section	.text._ZN9rocsparseL35csrgemm_symbolic_fill_block_per_rowILj128ELj16ELj256ELj137ELj64EiiEEvT5_PKS1_S3_PKT4_S3_S6_S3_S6_S3_S6_PS1_21rocsparse_index_base_S8_S8_S8_bb,"axG",@progbits,_ZN9rocsparseL35csrgemm_symbolic_fill_block_per_rowILj128ELj16ELj256ELj137ELj64EiiEEvT5_PKS1_S3_PKT4_S3_S6_S3_S6_S3_S6_PS1_21rocsparse_index_base_S8_S8_S8_bb,comdat
	.globl	_ZN9rocsparseL35csrgemm_symbolic_fill_block_per_rowILj128ELj16ELj256ELj137ELj64EiiEEvT5_PKS1_S3_PKT4_S3_S6_S3_S6_S3_S6_PS1_21rocsparse_index_base_S8_S8_S8_bb ; -- Begin function _ZN9rocsparseL35csrgemm_symbolic_fill_block_per_rowILj128ELj16ELj256ELj137ELj64EiiEEvT5_PKS1_S3_PKT4_S3_S6_S3_S6_S3_S6_PS1_21rocsparse_index_base_S8_S8_S8_bb
	.p2align	8
	.type	_ZN9rocsparseL35csrgemm_symbolic_fill_block_per_rowILj128ELj16ELj256ELj137ELj64EiiEEvT5_PKS1_S3_PKT4_S3_S6_S3_S6_S3_S6_PS1_21rocsparse_index_base_S8_S8_S8_bb,@function
_ZN9rocsparseL35csrgemm_symbolic_fill_block_per_rowILj128ELj16ELj256ELj137ELj64EiiEEvT5_PKS1_S3_PKT4_S3_S6_S3_S6_S3_S6_PS1_21rocsparse_index_base_S8_S8_S8_bb: ; @_ZN9rocsparseL35csrgemm_symbolic_fill_block_per_rowILj128ELj16ELj256ELj137ELj64EiiEEvT5_PKS1_S3_PKT4_S3_S6_S3_S6_S3_S6_PS1_21rocsparse_index_base_S8_S8_S8_bb
; %bb.0:
	s_load_dwordx4 s[24:27], s[4:5], 0x48
	s_load_dwordx8 s[8:15], s[4:5], 0x28
	s_load_dword s33, s[4:5], 0x0
	s_load_dwordx8 s[16:23], s[4:5], 0x8
	s_movk_i32 s0, 0x100
	v_cmp_gt_u32_e64 s[0:1], s0, v0
	v_lshl_add_u32 v4, v0, 2, 0
	s_and_saveexec_b64 s[2:3], s[0:1]
	s_cbranch_execz .LBB7_3
; %bb.1:
	v_or_b32_e32 v1, 0xffffff80, v0
	v_lshl_add_u32 v2, v0, 2, 0
	s_mov_b64 s[28:29], 0
	s_waitcnt lgkmcnt(0)
	v_mov_b32_e32 v3, s33
.LBB7_2:                                ; =>This Inner Loop Header: Depth=1
	v_add_co_u32_e32 v1, vcc, 0x80, v1
	s_xor_b64 s[30:31], vcc, -1
	s_and_b64 s[30:31], exec, s[30:31]
	ds_write_b32 v2, v3
	s_or_b64 s[28:29], s[30:31], s[28:29]
	v_add_u32_e32 v2, 0x200, v2
	s_andn2_b64 exec, exec, s[28:29]
	s_cbranch_execnz .LBB7_2
.LBB7_3:
	s_or_b64 exec, exec, s[2:3]
	s_load_dword s42, s[4:5], 0x68
	s_waitcnt lgkmcnt(0)
	s_barrier
	s_load_dword s7, s[16:17], 0x0
	s_load_dwordx4 s[28:31], s[4:5], 0x58
	s_bitcmp1_b32 s42, 0
	s_cselect_b64 s[2:3], -1, 0
	s_mov_b32 s5, 0
	s_waitcnt lgkmcnt(0)
	s_add_i32 s4, s7, s6
	s_lshl_b64 s[4:5], s[4:5], 2
	s_add_u32 s4, s18, s4
	s_addc_u32 s5, s19, s5
	s_load_dword s4, s[4:5], 0x0
	s_and_b64 vcc, exec, s[2:3]
	v_lshrrev_b32_e32 v5, 4, v0
	s_cbranch_vccz .LBB7_19
; %bb.4:
	s_waitcnt lgkmcnt(0)
	s_ashr_i32 s5, s4, 31
	s_lshl_b64 s[2:3], s[4:5], 2
	s_add_u32 s2, s20, s2
	s_addc_u32 s3, s21, s3
	s_load_dwordx2 s[6:7], s[2:3], 0x0
	v_subrev_u32_e32 v1, s28, v5
	s_waitcnt lgkmcnt(0)
	s_sub_i32 s5, s7, s28
	v_add_u32_e32 v1, s6, v1
	v_cmp_gt_i32_e32 vcc, s5, v1
	s_and_saveexec_b64 s[2:3], vcc
	s_cbranch_execz .LBB7_18
; %bb.5:
	v_and_b32_e32 v2, 15, v0
	v_subrev_u32_e32 v6, s29, v2
	s_mov_b64 s[6:7], 0
	v_mov_b32_e32 v7, s23
	v_mov_b32_e32 v8, s9
	s_movk_i32 s9, 0x89
	s_branch .LBB7_7
.LBB7_6:                                ;   in Loop: Header=BB7_7 Depth=1
	s_or_b64 exec, exec, s[16:17]
	v_add_u32_e32 v1, 8, v1
	v_cmp_le_i32_e32 vcc, s5, v1
	s_or_b64 s[6:7], vcc, s[6:7]
	s_andn2_b64 exec, exec, s[6:7]
	s_cbranch_execz .LBB7_18
.LBB7_7:                                ; =>This Loop Header: Depth=1
                                        ;     Child Loop BB7_10 Depth 2
                                        ;       Child Loop BB7_13 Depth 3
	v_ashrrev_i32_e32 v2, 31, v1
	v_lshlrev_b64 v[2:3], 2, v[1:2]
	v_add_co_u32_e32 v2, vcc, s22, v2
	v_addc_co_u32_e32 v3, vcc, v7, v3, vcc
	global_load_dword v2, v[2:3], off
	s_waitcnt vmcnt(0)
	v_subrev_u32_e32 v2, s28, v2
	v_ashrrev_i32_e32 v3, 31, v2
	v_lshlrev_b64 v[2:3], 2, v[2:3]
	v_add_co_u32_e32 v2, vcc, s8, v2
	v_addc_co_u32_e32 v3, vcc, v8, v3, vcc
	global_load_dwordx2 v[2:3], v[2:3], off
	s_waitcnt vmcnt(0)
	v_subrev_u32_e32 v9, s29, v3
	v_add_u32_e32 v2, v2, v6
	v_cmp_lt_i32_e32 vcc, v2, v9
	s_and_saveexec_b64 s[16:17], vcc
	s_cbranch_execz .LBB7_6
; %bb.8:                                ;   in Loop: Header=BB7_7 Depth=1
	s_mov_b64 s[18:19], 0
	s_branch .LBB7_10
.LBB7_9:                                ;   in Loop: Header=BB7_10 Depth=2
	s_or_b64 exec, exec, s[20:21]
	v_add_u32_e32 v2, 16, v2
	v_cmp_ge_i32_e32 vcc, v2, v9
	s_or_b64 s[18:19], vcc, s[18:19]
	s_andn2_b64 exec, exec, s[18:19]
	s_cbranch_execz .LBB7_6
.LBB7_10:                               ;   Parent Loop BB7_7 Depth=1
                                        ; =>  This Loop Header: Depth=2
                                        ;       Child Loop BB7_13 Depth 3
	v_ashrrev_i32_e32 v3, 31, v2
	v_lshlrev_b64 v[10:11], 2, v[2:3]
	v_mov_b32_e32 v3, s11
	v_add_co_u32_e32 v10, vcc, s10, v10
	v_addc_co_u32_e32 v11, vcc, v3, v11, vcc
	global_load_dword v3, v[10:11], off
	s_mov_b64 s[20:21], 0
                                        ; implicit-def: $sgpr34_sgpr35
	s_waitcnt vmcnt(0)
	v_subrev_u32_e32 v3, s29, v3
	v_mul_lo_u32 v10, v3, s9
	v_and_b32_e32 v10, 0xff, v10
	s_branch .LBB7_13
.LBB7_11:                               ;   in Loop: Header=BB7_13 Depth=3
	s_or_b64 exec, exec, s[38:39]
	s_andn2_b64 s[34:35], s[34:35], exec
	s_and_b64 s[38:39], s[40:41], exec
	s_or_b64 s[34:35], s[34:35], s[38:39]
.LBB7_12:                               ;   in Loop: Header=BB7_13 Depth=3
	s_or_b64 exec, exec, s[36:37]
	s_xor_b64 s[36:37], s[34:35], -1
	s_and_b64 s[36:37], exec, s[36:37]
	s_or_b64 s[20:21], s[36:37], s[20:21]
	s_andn2_b64 exec, exec, s[20:21]
	s_cbranch_execz .LBB7_9
.LBB7_13:                               ;   Parent Loop BB7_7 Depth=1
                                        ;     Parent Loop BB7_10 Depth=2
                                        ; =>    This Inner Loop Header: Depth=3
	v_lshl_add_u32 v11, v10, 2, 0
	ds_read_b32 v12, v11
	s_andn2_b64 s[34:35], s[34:35], exec
	s_waitcnt lgkmcnt(0)
	v_cmp_ne_u32_e32 vcc, v12, v3
	s_and_saveexec_b64 s[36:37], vcc
	s_cbranch_execz .LBB7_12
; %bb.14:                               ;   in Loop: Header=BB7_13 Depth=3
	v_cmp_ne_u32_e32 vcc, s33, v12
	s_and_saveexec_b64 s[38:39], vcc
	s_xor_b64 s[38:39], exec, s[38:39]
; %bb.15:                               ;   in Loop: Header=BB7_13 Depth=3
	v_add_u32_e32 v10, 1, v10
	v_and_b32_e32 v10, 0xff, v10
                                        ; implicit-def: $vgpr11
; %bb.16:                               ;   in Loop: Header=BB7_13 Depth=3
	s_or_saveexec_b64 s[38:39], s[38:39]
	s_mov_b64 s[40:41], -1
	s_xor_b64 exec, exec, s[38:39]
	s_cbranch_execz .LBB7_11
; %bb.17:                               ;   in Loop: Header=BB7_13 Depth=3
	v_mov_b32_e32 v12, s33
	ds_cmpst_rtn_b32 v11, v11, v12, v3
	s_waitcnt lgkmcnt(0)
	v_cmp_ne_u32_e32 vcc, s33, v11
	s_orn2_b64 s[40:41], vcc, exec
	s_branch .LBB7_11
.LBB7_18:
	s_or_b64 exec, exec, s[2:3]
.LBB7_19:
	s_bfe_u32 s2, s42, 0x10008
	s_cmp_eq_u32 s2, 0
	s_cbranch_scc1 .LBB7_32
; %bb.20:
	s_waitcnt lgkmcnt(0)
	s_ashr_i32 s5, s4, 31
	s_lshl_b64 s[2:3], s[4:5], 2
	s_add_u32 s2, s12, s2
	s_addc_u32 s3, s13, s3
	s_load_dwordx2 s[6:7], s[2:3], 0x0
	v_subrev_u32_e32 v1, s31, v0
	s_waitcnt lgkmcnt(0)
	s_sub_i32 s5, s7, s31
	v_add_u32_e32 v1, s6, v1
	v_cmp_gt_i32_e32 vcc, s5, v1
	s_and_saveexec_b64 s[2:3], vcc
	s_cbranch_execz .LBB7_31
; %bb.21:
	s_mov_b64 s[6:7], 0
	v_mov_b32_e32 v3, s15
	s_movk_i32 s15, 0x89
	s_branch .LBB7_23
.LBB7_22:                               ;   in Loop: Header=BB7_23 Depth=1
	s_or_b64 exec, exec, s[8:9]
	v_add_u32_e32 v1, 0x80, v1
	v_cmp_le_i32_e32 vcc, s5, v1
	s_or_b64 s[6:7], vcc, s[6:7]
	s_andn2_b64 exec, exec, s[6:7]
	s_cbranch_execz .LBB7_31
.LBB7_23:                               ; =>This Loop Header: Depth=1
                                        ;     Child Loop BB7_26 Depth 2
	v_ashrrev_i32_e32 v2, 31, v1
	v_lshlrev_b64 v[6:7], 2, v[1:2]
	s_mov_b64 s[8:9], 0
	v_add_co_u32_e32 v6, vcc, s14, v6
	v_addc_co_u32_e32 v7, vcc, v3, v7, vcc
	global_load_dword v2, v[6:7], off
                                        ; implicit-def: $sgpr10_sgpr11
	s_waitcnt vmcnt(0)
	v_subrev_u32_e32 v2, s31, v2
	v_mul_lo_u32 v6, v2, s15
	v_and_b32_e32 v6, 0xff, v6
	s_branch .LBB7_26
.LBB7_24:                               ;   in Loop: Header=BB7_26 Depth=2
	s_or_b64 exec, exec, s[16:17]
	s_andn2_b64 s[10:11], s[10:11], exec
	s_and_b64 s[16:17], s[18:19], exec
	s_or_b64 s[10:11], s[10:11], s[16:17]
.LBB7_25:                               ;   in Loop: Header=BB7_26 Depth=2
	s_or_b64 exec, exec, s[12:13]
	s_xor_b64 s[12:13], s[10:11], -1
	s_and_b64 s[12:13], exec, s[12:13]
	s_or_b64 s[8:9], s[12:13], s[8:9]
	s_andn2_b64 exec, exec, s[8:9]
	s_cbranch_execz .LBB7_22
.LBB7_26:                               ;   Parent Loop BB7_23 Depth=1
                                        ; =>  This Inner Loop Header: Depth=2
	v_lshl_add_u32 v7, v6, 2, 0
	ds_read_b32 v8, v7
	s_andn2_b64 s[10:11], s[10:11], exec
	s_waitcnt lgkmcnt(0)
	v_cmp_ne_u32_e32 vcc, v8, v2
	s_and_saveexec_b64 s[12:13], vcc
	s_cbranch_execz .LBB7_25
; %bb.27:                               ;   in Loop: Header=BB7_26 Depth=2
	v_cmp_ne_u32_e32 vcc, s33, v8
	s_and_saveexec_b64 s[16:17], vcc
	s_xor_b64 s[16:17], exec, s[16:17]
; %bb.28:                               ;   in Loop: Header=BB7_26 Depth=2
	v_add_u32_e32 v6, 1, v6
	v_and_b32_e32 v6, 0xff, v6
                                        ; implicit-def: $vgpr7
; %bb.29:                               ;   in Loop: Header=BB7_26 Depth=2
	s_or_saveexec_b64 s[16:17], s[16:17]
	s_mov_b64 s[18:19], -1
	s_xor_b64 exec, exec, s[16:17]
	s_cbranch_execz .LBB7_24
; %bb.30:                               ;   in Loop: Header=BB7_26 Depth=2
	v_mov_b32_e32 v8, s33
	ds_cmpst_rtn_b32 v7, v7, v8, v2
	s_waitcnt lgkmcnt(0)
	v_cmp_ne_u32_e32 vcc, s33, v7
	s_orn2_b64 s[18:19], vcc, exec
	s_branch .LBB7_24
.LBB7_31:
	s_or_b64 exec, exec, s[2:3]
.LBB7_32:
	s_waitcnt lgkmcnt(0)
	s_barrier
	s_and_saveexec_b64 s[6:7], s[0:1]
	s_cbranch_execz .LBB7_41
; %bb.33:
	v_mbcnt_lo_u32_b32 v1, -1, 0
	v_mbcnt_hi_u32_b32 v1, -1, v1
	v_sub_u32_e32 v1, 63, v1
	v_lshrrev_b64 v[1:2], v1, -1
	v_and_b32_e32 v5, 4, v5
	s_movk_i32 s2, 0x7f
	v_mov_b32_e32 v3, 0
	v_add_u32_e32 v5, 0, v5
	v_cmp_lt_u32_e64 s[0:1], 63, v0
	v_cmp_eq_u32_e64 s[2:3], s2, v0
	v_or_b32_e32 v6, 0xffffff80, v0
	s_mov_b64 s[8:9], 0
	v_mov_b32_e32 v7, 0
	s_branch .LBB7_35
.LBB7_34:                               ;   in Loop: Header=BB7_35 Depth=1
	s_or_b64 exec, exec, s[10:11]
	s_waitcnt lgkmcnt(0)
	s_barrier
	ds_read_b32 v8, v3 offset:1028
	v_add_co_u32_e32 v6, vcc, 0x80, v6
	s_xor_b64 s[10:11], vcc, -1
	s_and_b64 s[10:11], exec, s[10:11]
	s_waitcnt lgkmcnt(0)
	v_add_u32_e32 v7, v8, v7
	s_or_b64 s[8:9], s[10:11], s[8:9]
	v_add_u32_e32 v4, 0x200, v4
	s_andn2_b64 exec, exec, s[8:9]
	s_cbranch_execz .LBB7_41
.LBB7_35:                               ; =>This Inner Loop Header: Depth=1
	ds_read_b32 v8, v4
	s_waitcnt lgkmcnt(0)
	s_barrier
	v_cmp_gt_i32_e32 vcc, s33, v8
	v_and_b32_e32 v10, vcc_lo, v1
	s_bcnt1_i32_b64 s5, vcc
	v_and_b32_e32 v9, vcc_hi, v2
	v_bcnt_u32_b32 v10, v10, 0
	v_bcnt_u32_b32 v9, v9, v10
	v_mov_b32_e32 v10, s5
	ds_write_b32 v5, v10 offset:1024
	s_waitcnt lgkmcnt(0)
	s_barrier
	s_and_saveexec_b64 s[10:11], s[0:1]
	s_cbranch_execnz .LBB7_38
; %bb.36:                               ;   in Loop: Header=BB7_35 Depth=1
	s_or_b64 exec, exec, s[10:11]
	s_and_saveexec_b64 s[10:11], vcc
	s_cbranch_execnz .LBB7_39
.LBB7_37:                               ;   in Loop: Header=BB7_35 Depth=1
	s_or_b64 exec, exec, s[10:11]
	s_and_saveexec_b64 s[10:11], s[2:3]
	s_cbranch_execz .LBB7_34
	s_branch .LBB7_40
.LBB7_38:                               ;   in Loop: Header=BB7_35 Depth=1
	ds_read_b32 v10, v3 offset:1024
	s_waitcnt lgkmcnt(0)
	v_add_u32_e32 v9, v10, v9
	s_or_b64 exec, exec, s[10:11]
	s_and_saveexec_b64 s[10:11], vcc
	s_cbranch_execz .LBB7_37
.LBB7_39:                               ;   in Loop: Header=BB7_35 Depth=1
	v_lshlrev_b32_e32 v10, 2, v7
	v_add_u32_e32 v10, 0, v10
	v_lshlrev_b32_e32 v11, 2, v9
	v_add3_u32 v10, v10, v11, -4
	ds_write_b32 v10, v8
	s_or_b64 exec, exec, s[10:11]
	s_and_saveexec_b64 s[10:11], s[2:3]
	s_cbranch_execz .LBB7_34
.LBB7_40:                               ;   in Loop: Header=BB7_35 Depth=1
	ds_write_b32 v3, v9 offset:1028
	s_branch .LBB7_34
.LBB7_41:
	s_or_b64 exec, exec, s[6:7]
	s_ashr_i32 s5, s4, 31
	s_lshl_b64 s[0:1], s[4:5], 2
	s_add_u32 s2, s24, s0
	s_addc_u32 s3, s25, s1
	s_load_dwordx2 s[0:1], s[2:3], 0x0
	s_waitcnt lgkmcnt(0)
	s_sub_i32 s6, s1, s0
	v_cmp_gt_i32_e32 vcc, s6, v0
	s_and_saveexec_b64 s[2:3], vcc
	s_cbranch_execz .LBB7_51
; %bb.42:
	s_sub_i32 s7, s0, s30
	s_and_b32 s8, s6, 7
	s_sub_i32 s0, s0, s1
	s_cmp_lt_u32 s0, -7
	s_cselect_b64 s[0:1], -1, 0
	s_and_b32 s9, s6, -8
	s_cmp_lg_u32 s8, 0
	v_cndmask_b32_e64 v1, 0, 1, s[0:1]
	s_cselect_b64 s[2:3], -1, 0
	v_cmp_ne_u32_e64 s[0:1], 1, v1
	v_cndmask_b32_e64 v1, 0, 1, s[2:3]
	s_mov_b64 s[4:5], 0
	v_cmp_ne_u32_e64 s[2:3], 1, v1
	v_mov_b32_e32 v3, s27
	s_branch .LBB7_44
.LBB7_43:                               ;   in Loop: Header=BB7_44 Depth=1
	s_waitcnt lgkmcnt(0)
	v_add_u32_e32 v4, s30, v2
	v_ashrrev_i32_e32 v2, 31, v1
	v_lshlrev_b64 v[1:2], 2, v[1:2]
	v_add_u32_e32 v0, 0x80, v0
	v_add_co_u32_e32 v1, vcc, s26, v1
	v_addc_co_u32_e32 v2, vcc, v3, v2, vcc
	v_cmp_le_i32_e32 vcc, s6, v0
	s_or_b64 s[4:5], vcc, s[4:5]
	global_store_dword v[1:2], v4, off
	s_andn2_b64 exec, exec, s[4:5]
	s_cbranch_execz .LBB7_51
.LBB7_44:                               ; =>This Loop Header: Depth=1
                                        ;     Child Loop BB7_46 Depth 2
                                        ;     Child Loop BB7_50 Depth 2
	v_lshl_add_u32 v1, v0, 2, 0
	ds_read_b32 v2, v1
	s_and_b64 vcc, exec, s[0:1]
	v_mov_b32_e32 v1, s7
	s_mov_b32 s10, 0
	s_cbranch_vccnz .LBB7_48
; %bb.45:                               ;   in Loop: Header=BB7_44 Depth=1
	s_mov_b32 s11, 0
	v_mov_b32_e32 v1, s7
.LBB7_46:                               ;   Parent Loop BB7_44 Depth=1
                                        ; =>  This Inner Loop Header: Depth=2
	v_mov_b32_e32 v10, s11
	ds_read2_b32 v[4:5], v10 offset1:1
	ds_read2_b32 v[6:7], v10 offset0:2 offset1:3
	ds_read2_b32 v[8:9], v10 offset0:4 offset1:5
	;; [unrolled: 1-line block ×3, first 2 shown]
	s_add_i32 s10, s10, 8
	s_waitcnt lgkmcnt(3)
	v_cmp_gt_i32_e32 vcc, v2, v4
	v_cndmask_b32_e64 v4, 0, 1, vcc
	s_waitcnt lgkmcnt(2)
	v_cmp_gt_i32_e32 vcc, v2, v6
	v_cndmask_b32_e64 v6, 0, 1, vcc
	;; [unrolled: 3-line block ×4, first 2 shown]
	v_cmp_gt_i32_e32 vcc, v2, v5
	v_addc_co_u32_e32 v1, vcc, v1, v4, vcc
	v_cmp_gt_i32_e32 vcc, v2, v7
	v_addc_co_u32_e32 v1, vcc, v1, v6, vcc
	;; [unrolled: 2-line block ×3, first 2 shown]
	s_add_i32 s11, s11, 32
	v_cmp_gt_i32_e32 vcc, v2, v11
	s_cmp_eq_u32 s9, s10
	v_addc_co_u32_e32 v1, vcc, v1, v10, vcc
	s_cbranch_scc0 .LBB7_46
; %bb.47:                               ;   in Loop: Header=BB7_44 Depth=1
	s_mov_b32 s10, s9
.LBB7_48:                               ;   in Loop: Header=BB7_44 Depth=1
	s_and_b64 vcc, exec, s[2:3]
	s_cbranch_vccnz .LBB7_43
; %bb.49:                               ;   in Loop: Header=BB7_44 Depth=1
	s_lshl_b32 s10, s10, 2
	s_add_i32 s10, s10, 0
	s_mov_b32 s11, s8
.LBB7_50:                               ;   Parent Loop BB7_44 Depth=1
                                        ; =>  This Inner Loop Header: Depth=2
	v_mov_b32_e32 v4, s10
	ds_read_b32 v4, v4
	s_add_i32 s10, s10, 4
	s_add_i32 s11, s11, -1
	s_cmp_lg_u32 s11, 0
	s_waitcnt lgkmcnt(0)
	v_cmp_gt_i32_e32 vcc, v2, v4
	v_addc_co_u32_e32 v1, vcc, 0, v1, vcc
	s_cbranch_scc1 .LBB7_50
	s_branch .LBB7_43
.LBB7_51:
	s_endpgm
	.section	.rodata,"a",@progbits
	.p2align	6, 0x0
	.amdhsa_kernel _ZN9rocsparseL35csrgemm_symbolic_fill_block_per_rowILj128ELj16ELj256ELj137ELj64EiiEEvT5_PKS1_S3_PKT4_S3_S6_S3_S6_S3_S6_PS1_21rocsparse_index_base_S8_S8_S8_bb
		.amdhsa_group_segment_fixed_size 0
		.amdhsa_private_segment_fixed_size 0
		.amdhsa_kernarg_size 108
		.amdhsa_user_sgpr_count 6
		.amdhsa_user_sgpr_private_segment_buffer 1
		.amdhsa_user_sgpr_dispatch_ptr 0
		.amdhsa_user_sgpr_queue_ptr 0
		.amdhsa_user_sgpr_kernarg_segment_ptr 1
		.amdhsa_user_sgpr_dispatch_id 0
		.amdhsa_user_sgpr_flat_scratch_init 0
		.amdhsa_user_sgpr_private_segment_size 0
		.amdhsa_uses_dynamic_stack 0
		.amdhsa_system_sgpr_private_segment_wavefront_offset 0
		.amdhsa_system_sgpr_workgroup_id_x 1
		.amdhsa_system_sgpr_workgroup_id_y 0
		.amdhsa_system_sgpr_workgroup_id_z 0
		.amdhsa_system_sgpr_workgroup_info 0
		.amdhsa_system_vgpr_workitem_id 0
		.amdhsa_next_free_vgpr 13
		.amdhsa_next_free_sgpr 43
		.amdhsa_reserve_vcc 1
		.amdhsa_reserve_flat_scratch 0
		.amdhsa_float_round_mode_32 0
		.amdhsa_float_round_mode_16_64 0
		.amdhsa_float_denorm_mode_32 3
		.amdhsa_float_denorm_mode_16_64 3
		.amdhsa_dx10_clamp 1
		.amdhsa_ieee_mode 1
		.amdhsa_fp16_overflow 0
		.amdhsa_exception_fp_ieee_invalid_op 0
		.amdhsa_exception_fp_denorm_src 0
		.amdhsa_exception_fp_ieee_div_zero 0
		.amdhsa_exception_fp_ieee_overflow 0
		.amdhsa_exception_fp_ieee_underflow 0
		.amdhsa_exception_fp_ieee_inexact 0
		.amdhsa_exception_int_div_zero 0
	.end_amdhsa_kernel
	.section	.text._ZN9rocsparseL35csrgemm_symbolic_fill_block_per_rowILj128ELj16ELj256ELj137ELj64EiiEEvT5_PKS1_S3_PKT4_S3_S6_S3_S6_S3_S6_PS1_21rocsparse_index_base_S8_S8_S8_bb,"axG",@progbits,_ZN9rocsparseL35csrgemm_symbolic_fill_block_per_rowILj128ELj16ELj256ELj137ELj64EiiEEvT5_PKS1_S3_PKT4_S3_S6_S3_S6_S3_S6_PS1_21rocsparse_index_base_S8_S8_S8_bb,comdat
.Lfunc_end7:
	.size	_ZN9rocsparseL35csrgemm_symbolic_fill_block_per_rowILj128ELj16ELj256ELj137ELj64EiiEEvT5_PKS1_S3_PKT4_S3_S6_S3_S6_S3_S6_PS1_21rocsparse_index_base_S8_S8_S8_bb, .Lfunc_end7-_ZN9rocsparseL35csrgemm_symbolic_fill_block_per_rowILj128ELj16ELj256ELj137ELj64EiiEEvT5_PKS1_S3_PKT4_S3_S6_S3_S6_S3_S6_PS1_21rocsparse_index_base_S8_S8_S8_bb
                                        ; -- End function
	.set _ZN9rocsparseL35csrgemm_symbolic_fill_block_per_rowILj128ELj16ELj256ELj137ELj64EiiEEvT5_PKS1_S3_PKT4_S3_S6_S3_S6_S3_S6_PS1_21rocsparse_index_base_S8_S8_S8_bb.num_vgpr, 13
	.set _ZN9rocsparseL35csrgemm_symbolic_fill_block_per_rowILj128ELj16ELj256ELj137ELj64EiiEEvT5_PKS1_S3_PKT4_S3_S6_S3_S6_S3_S6_PS1_21rocsparse_index_base_S8_S8_S8_bb.num_agpr, 0
	.set _ZN9rocsparseL35csrgemm_symbolic_fill_block_per_rowILj128ELj16ELj256ELj137ELj64EiiEEvT5_PKS1_S3_PKT4_S3_S6_S3_S6_S3_S6_PS1_21rocsparse_index_base_S8_S8_S8_bb.numbered_sgpr, 43
	.set _ZN9rocsparseL35csrgemm_symbolic_fill_block_per_rowILj128ELj16ELj256ELj137ELj64EiiEEvT5_PKS1_S3_PKT4_S3_S6_S3_S6_S3_S6_PS1_21rocsparse_index_base_S8_S8_S8_bb.num_named_barrier, 0
	.set _ZN9rocsparseL35csrgemm_symbolic_fill_block_per_rowILj128ELj16ELj256ELj137ELj64EiiEEvT5_PKS1_S3_PKT4_S3_S6_S3_S6_S3_S6_PS1_21rocsparse_index_base_S8_S8_S8_bb.private_seg_size, 0
	.set _ZN9rocsparseL35csrgemm_symbolic_fill_block_per_rowILj128ELj16ELj256ELj137ELj64EiiEEvT5_PKS1_S3_PKT4_S3_S6_S3_S6_S3_S6_PS1_21rocsparse_index_base_S8_S8_S8_bb.uses_vcc, 1
	.set _ZN9rocsparseL35csrgemm_symbolic_fill_block_per_rowILj128ELj16ELj256ELj137ELj64EiiEEvT5_PKS1_S3_PKT4_S3_S6_S3_S6_S3_S6_PS1_21rocsparse_index_base_S8_S8_S8_bb.uses_flat_scratch, 0
	.set _ZN9rocsparseL35csrgemm_symbolic_fill_block_per_rowILj128ELj16ELj256ELj137ELj64EiiEEvT5_PKS1_S3_PKT4_S3_S6_S3_S6_S3_S6_PS1_21rocsparse_index_base_S8_S8_S8_bb.has_dyn_sized_stack, 0
	.set _ZN9rocsparseL35csrgemm_symbolic_fill_block_per_rowILj128ELj16ELj256ELj137ELj64EiiEEvT5_PKS1_S3_PKT4_S3_S6_S3_S6_S3_S6_PS1_21rocsparse_index_base_S8_S8_S8_bb.has_recursion, 0
	.set _ZN9rocsparseL35csrgemm_symbolic_fill_block_per_rowILj128ELj16ELj256ELj137ELj64EiiEEvT5_PKS1_S3_PKT4_S3_S6_S3_S6_S3_S6_PS1_21rocsparse_index_base_S8_S8_S8_bb.has_indirect_call, 0
	.section	.AMDGPU.csdata,"",@progbits
; Kernel info:
; codeLenInByte = 1772
; TotalNumSgprs: 47
; NumVgprs: 13
; ScratchSize: 0
; MemoryBound: 0
; FloatMode: 240
; IeeeMode: 1
; LDSByteSize: 0 bytes/workgroup (compile time only)
; SGPRBlocks: 5
; VGPRBlocks: 3
; NumSGPRsForWavesPerEU: 47
; NumVGPRsForWavesPerEU: 13
; Occupancy: 10
; WaveLimiterHint : 1
; COMPUTE_PGM_RSRC2:SCRATCH_EN: 0
; COMPUTE_PGM_RSRC2:USER_SGPR: 6
; COMPUTE_PGM_RSRC2:TRAP_HANDLER: 0
; COMPUTE_PGM_RSRC2:TGID_X_EN: 1
; COMPUTE_PGM_RSRC2:TGID_Y_EN: 0
; COMPUTE_PGM_RSRC2:TGID_Z_EN: 0
; COMPUTE_PGM_RSRC2:TIDIG_COMP_CNT: 0
	.section	.text._ZN9rocsparseL35csrgemm_symbolic_fill_block_per_rowILj256ELj32ELj512ELj137ELj32EiiEEvT5_PKS1_S3_PKT4_S3_S6_S3_S6_S3_S6_PS1_21rocsparse_index_base_S8_S8_S8_bb,"axG",@progbits,_ZN9rocsparseL35csrgemm_symbolic_fill_block_per_rowILj256ELj32ELj512ELj137ELj32EiiEEvT5_PKS1_S3_PKT4_S3_S6_S3_S6_S3_S6_PS1_21rocsparse_index_base_S8_S8_S8_bb,comdat
	.globl	_ZN9rocsparseL35csrgemm_symbolic_fill_block_per_rowILj256ELj32ELj512ELj137ELj32EiiEEvT5_PKS1_S3_PKT4_S3_S6_S3_S6_S3_S6_PS1_21rocsparse_index_base_S8_S8_S8_bb ; -- Begin function _ZN9rocsparseL35csrgemm_symbolic_fill_block_per_rowILj256ELj32ELj512ELj137ELj32EiiEEvT5_PKS1_S3_PKT4_S3_S6_S3_S6_S3_S6_PS1_21rocsparse_index_base_S8_S8_S8_bb
	.p2align	8
	.type	_ZN9rocsparseL35csrgemm_symbolic_fill_block_per_rowILj256ELj32ELj512ELj137ELj32EiiEEvT5_PKS1_S3_PKT4_S3_S6_S3_S6_S3_S6_PS1_21rocsparse_index_base_S8_S8_S8_bb,@function
_ZN9rocsparseL35csrgemm_symbolic_fill_block_per_rowILj256ELj32ELj512ELj137ELj32EiiEEvT5_PKS1_S3_PKT4_S3_S6_S3_S6_S3_S6_PS1_21rocsparse_index_base_S8_S8_S8_bb: ; @_ZN9rocsparseL35csrgemm_symbolic_fill_block_per_rowILj256ELj32ELj512ELj137ELj32EiiEEvT5_PKS1_S3_PKT4_S3_S6_S3_S6_S3_S6_PS1_21rocsparse_index_base_S8_S8_S8_bb
; %bb.0:
	s_load_dwordx4 s[24:27], s[4:5], 0x48
	s_load_dwordx8 s[8:15], s[4:5], 0x28
	s_load_dword s33, s[4:5], 0x0
	s_load_dwordx8 s[16:23], s[4:5], 0x8
	s_movk_i32 s0, 0x200
	v_cmp_gt_u32_e64 s[0:1], s0, v0
	v_lshl_add_u32 v4, v0, 2, 0
	s_and_saveexec_b64 s[2:3], s[0:1]
	s_cbranch_execz .LBB8_3
; %bb.1:
	v_or_b32_e32 v1, 0xffffff00, v0
	v_lshl_add_u32 v2, v0, 2, 0
	s_mov_b64 s[28:29], 0
	s_waitcnt lgkmcnt(0)
	v_mov_b32_e32 v3, s33
.LBB8_2:                                ; =>This Inner Loop Header: Depth=1
	v_add_co_u32_e32 v1, vcc, 0x100, v1
	s_xor_b64 s[30:31], vcc, -1
	s_and_b64 s[30:31], exec, s[30:31]
	ds_write_b32 v2, v3
	s_or_b64 s[28:29], s[30:31], s[28:29]
	v_add_u32_e32 v2, 0x400, v2
	s_andn2_b64 exec, exec, s[28:29]
	s_cbranch_execnz .LBB8_2
.LBB8_3:
	s_or_b64 exec, exec, s[2:3]
	s_load_dword s42, s[4:5], 0x68
	s_waitcnt lgkmcnt(0)
	s_barrier
	s_load_dword s7, s[16:17], 0x0
	s_load_dwordx4 s[28:31], s[4:5], 0x58
	s_bitcmp1_b32 s42, 0
	s_cselect_b64 s[2:3], -1, 0
	s_mov_b32 s5, 0
	s_waitcnt lgkmcnt(0)
	s_add_i32 s4, s7, s6
	s_lshl_b64 s[4:5], s[4:5], 2
	s_add_u32 s4, s18, s4
	s_addc_u32 s5, s19, s5
	s_load_dword s16, s[4:5], 0x0
	v_lshrrev_b32_e32 v5, 5, v0
	s_and_b64 vcc, exec, s[2:3]
	s_cbranch_vccz .LBB8_19
; %bb.4:
	s_waitcnt lgkmcnt(0)
	s_ashr_i32 s17, s16, 31
	s_lshl_b64 s[2:3], s[16:17], 2
	s_add_u32 s2, s20, s2
	s_addc_u32 s3, s21, s3
	s_load_dwordx2 s[4:5], s[2:3], 0x0
	v_subrev_u32_e32 v1, s28, v5
	s_waitcnt lgkmcnt(0)
	s_sub_i32 s17, s5, s28
	v_add_u32_e32 v1, s4, v1
	v_cmp_gt_i32_e32 vcc, s17, v1
	s_and_saveexec_b64 s[2:3], vcc
	s_cbranch_execz .LBB8_18
; %bb.5:
	v_and_b32_e32 v2, 31, v0
	v_subrev_u32_e32 v6, s29, v2
	s_mov_b64 s[4:5], 0
	v_mov_b32_e32 v7, s23
	v_mov_b32_e32 v8, s9
	s_movk_i32 s9, 0x89
	s_branch .LBB8_7
.LBB8_6:                                ;   in Loop: Header=BB8_7 Depth=1
	s_or_b64 exec, exec, s[6:7]
	v_add_u32_e32 v1, 8, v1
	v_cmp_le_i32_e32 vcc, s17, v1
	s_or_b64 s[4:5], vcc, s[4:5]
	s_andn2_b64 exec, exec, s[4:5]
	s_cbranch_execz .LBB8_18
.LBB8_7:                                ; =>This Loop Header: Depth=1
                                        ;     Child Loop BB8_10 Depth 2
                                        ;       Child Loop BB8_13 Depth 3
	v_ashrrev_i32_e32 v2, 31, v1
	v_lshlrev_b64 v[2:3], 2, v[1:2]
	v_add_co_u32_e32 v2, vcc, s22, v2
	v_addc_co_u32_e32 v3, vcc, v7, v3, vcc
	global_load_dword v2, v[2:3], off
	s_waitcnt vmcnt(0)
	v_subrev_u32_e32 v2, s28, v2
	v_ashrrev_i32_e32 v3, 31, v2
	v_lshlrev_b64 v[2:3], 2, v[2:3]
	v_add_co_u32_e32 v2, vcc, s8, v2
	v_addc_co_u32_e32 v3, vcc, v8, v3, vcc
	global_load_dwordx2 v[2:3], v[2:3], off
	s_waitcnt vmcnt(0)
	v_subrev_u32_e32 v9, s29, v3
	v_add_u32_e32 v2, v2, v6
	v_cmp_lt_i32_e32 vcc, v2, v9
	s_and_saveexec_b64 s[6:7], vcc
	s_cbranch_execz .LBB8_6
; %bb.8:                                ;   in Loop: Header=BB8_7 Depth=1
	s_mov_b64 s[18:19], 0
	s_branch .LBB8_10
.LBB8_9:                                ;   in Loop: Header=BB8_10 Depth=2
	s_or_b64 exec, exec, s[20:21]
	v_add_u32_e32 v2, 32, v2
	v_cmp_ge_i32_e32 vcc, v2, v9
	s_or_b64 s[18:19], vcc, s[18:19]
	s_andn2_b64 exec, exec, s[18:19]
	s_cbranch_execz .LBB8_6
.LBB8_10:                               ;   Parent Loop BB8_7 Depth=1
                                        ; =>  This Loop Header: Depth=2
                                        ;       Child Loop BB8_13 Depth 3
	v_ashrrev_i32_e32 v3, 31, v2
	v_lshlrev_b64 v[10:11], 2, v[2:3]
	v_mov_b32_e32 v3, s11
	v_add_co_u32_e32 v10, vcc, s10, v10
	v_addc_co_u32_e32 v11, vcc, v3, v11, vcc
	global_load_dword v3, v[10:11], off
	s_mov_b64 s[20:21], 0
                                        ; implicit-def: $sgpr34_sgpr35
	s_waitcnt vmcnt(0)
	v_subrev_u32_e32 v3, s29, v3
	v_mul_lo_u32 v10, v3, s9
	v_and_b32_e32 v10, 0x1ff, v10
	s_branch .LBB8_13
.LBB8_11:                               ;   in Loop: Header=BB8_13 Depth=3
	s_or_b64 exec, exec, s[38:39]
	s_andn2_b64 s[34:35], s[34:35], exec
	s_and_b64 s[38:39], s[40:41], exec
	s_or_b64 s[34:35], s[34:35], s[38:39]
.LBB8_12:                               ;   in Loop: Header=BB8_13 Depth=3
	s_or_b64 exec, exec, s[36:37]
	s_xor_b64 s[36:37], s[34:35], -1
	s_and_b64 s[36:37], exec, s[36:37]
	s_or_b64 s[20:21], s[36:37], s[20:21]
	s_andn2_b64 exec, exec, s[20:21]
	s_cbranch_execz .LBB8_9
.LBB8_13:                               ;   Parent Loop BB8_7 Depth=1
                                        ;     Parent Loop BB8_10 Depth=2
                                        ; =>    This Inner Loop Header: Depth=3
	v_lshl_add_u32 v11, v10, 2, 0
	ds_read_b32 v12, v11
	s_andn2_b64 s[34:35], s[34:35], exec
	s_waitcnt lgkmcnt(0)
	v_cmp_ne_u32_e32 vcc, v12, v3
	s_and_saveexec_b64 s[36:37], vcc
	s_cbranch_execz .LBB8_12
; %bb.14:                               ;   in Loop: Header=BB8_13 Depth=3
	v_cmp_ne_u32_e32 vcc, s33, v12
	s_and_saveexec_b64 s[38:39], vcc
	s_xor_b64 s[38:39], exec, s[38:39]
; %bb.15:                               ;   in Loop: Header=BB8_13 Depth=3
	v_add_u32_e32 v10, 1, v10
	v_and_b32_e32 v10, 0x1ff, v10
                                        ; implicit-def: $vgpr11
; %bb.16:                               ;   in Loop: Header=BB8_13 Depth=3
	s_or_saveexec_b64 s[38:39], s[38:39]
	s_mov_b64 s[40:41], -1
	s_xor_b64 exec, exec, s[38:39]
	s_cbranch_execz .LBB8_11
; %bb.17:                               ;   in Loop: Header=BB8_13 Depth=3
	v_mov_b32_e32 v12, s33
	ds_cmpst_rtn_b32 v11, v11, v12, v3
	s_waitcnt lgkmcnt(0)
	v_cmp_ne_u32_e32 vcc, s33, v11
	s_orn2_b64 s[40:41], vcc, exec
	s_branch .LBB8_11
.LBB8_18:
	s_or_b64 exec, exec, s[2:3]
.LBB8_19:
	s_bfe_u32 s2, s42, 0x10008
	s_cmp_eq_u32 s2, 0
	s_cbranch_scc1 .LBB8_32
; %bb.20:
	s_waitcnt lgkmcnt(0)
	s_ashr_i32 s17, s16, 31
	s_lshl_b64 s[2:3], s[16:17], 2
	s_add_u32 s2, s12, s2
	s_addc_u32 s3, s13, s3
	s_load_dwordx2 s[4:5], s[2:3], 0x0
	v_subrev_u32_e32 v1, s31, v0
	s_waitcnt lgkmcnt(0)
	s_sub_i32 s17, s5, s31
	v_add_u32_e32 v1, s4, v1
	v_cmp_gt_i32_e32 vcc, s17, v1
	s_and_saveexec_b64 s[2:3], vcc
	s_cbranch_execz .LBB8_31
; %bb.21:
	s_mov_b64 s[4:5], 0
	v_mov_b32_e32 v3, s15
	s_movk_i32 s15, 0x89
	s_branch .LBB8_23
.LBB8_22:                               ;   in Loop: Header=BB8_23 Depth=1
	s_or_b64 exec, exec, s[6:7]
	v_add_u32_e32 v1, 0x100, v1
	v_cmp_le_i32_e32 vcc, s17, v1
	s_or_b64 s[4:5], vcc, s[4:5]
	s_andn2_b64 exec, exec, s[4:5]
	s_cbranch_execz .LBB8_31
.LBB8_23:                               ; =>This Loop Header: Depth=1
                                        ;     Child Loop BB8_26 Depth 2
	v_ashrrev_i32_e32 v2, 31, v1
	v_lshlrev_b64 v[6:7], 2, v[1:2]
	s_mov_b64 s[6:7], 0
	v_add_co_u32_e32 v6, vcc, s14, v6
	v_addc_co_u32_e32 v7, vcc, v3, v7, vcc
	global_load_dword v2, v[6:7], off
                                        ; implicit-def: $sgpr8_sgpr9
	s_waitcnt vmcnt(0)
	v_subrev_u32_e32 v2, s31, v2
	v_mul_lo_u32 v6, v2, s15
	v_and_b32_e32 v6, 0x1ff, v6
	s_branch .LBB8_26
.LBB8_24:                               ;   in Loop: Header=BB8_26 Depth=2
	s_or_b64 exec, exec, s[12:13]
	s_andn2_b64 s[8:9], s[8:9], exec
	s_and_b64 s[12:13], s[18:19], exec
	s_or_b64 s[8:9], s[8:9], s[12:13]
.LBB8_25:                               ;   in Loop: Header=BB8_26 Depth=2
	s_or_b64 exec, exec, s[10:11]
	s_xor_b64 s[10:11], s[8:9], -1
	s_and_b64 s[10:11], exec, s[10:11]
	s_or_b64 s[6:7], s[10:11], s[6:7]
	s_andn2_b64 exec, exec, s[6:7]
	s_cbranch_execz .LBB8_22
.LBB8_26:                               ;   Parent Loop BB8_23 Depth=1
                                        ; =>  This Inner Loop Header: Depth=2
	v_lshl_add_u32 v7, v6, 2, 0
	ds_read_b32 v8, v7
	s_andn2_b64 s[8:9], s[8:9], exec
	s_waitcnt lgkmcnt(0)
	v_cmp_ne_u32_e32 vcc, v8, v2
	s_and_saveexec_b64 s[10:11], vcc
	s_cbranch_execz .LBB8_25
; %bb.27:                               ;   in Loop: Header=BB8_26 Depth=2
	v_cmp_ne_u32_e32 vcc, s33, v8
	s_and_saveexec_b64 s[12:13], vcc
	s_xor_b64 s[12:13], exec, s[12:13]
; %bb.28:                               ;   in Loop: Header=BB8_26 Depth=2
	v_add_u32_e32 v6, 1, v6
	v_and_b32_e32 v6, 0x1ff, v6
                                        ; implicit-def: $vgpr7
; %bb.29:                               ;   in Loop: Header=BB8_26 Depth=2
	s_or_saveexec_b64 s[12:13], s[12:13]
	s_mov_b64 s[18:19], -1
	s_xor_b64 exec, exec, s[12:13]
	s_cbranch_execz .LBB8_24
; %bb.30:                               ;   in Loop: Header=BB8_26 Depth=2
	v_mov_b32_e32 v8, s33
	ds_cmpst_rtn_b32 v7, v7, v8, v2
	s_waitcnt lgkmcnt(0)
	v_cmp_ne_u32_e32 vcc, s33, v7
	s_orn2_b64 s[18:19], vcc, exec
	s_branch .LBB8_24
.LBB8_31:
	s_or_b64 exec, exec, s[2:3]
.LBB8_32:
	s_waitcnt lgkmcnt(0)
	s_barrier
	s_and_saveexec_b64 s[18:19], s[0:1]
	s_cbranch_execz .LBB8_53
; %bb.33:
	v_mbcnt_lo_u32_b32 v1, -1, 0
	v_mbcnt_hi_u32_b32 v1, -1, v1
	v_sub_u32_e32 v1, 63, v1
	v_lshrrev_b64 v[1:2], v1, -1
	s_movk_i32 s0, 0xff
	s_movk_i32 s6, 0x5f
	;; [unrolled: 1-line block ×6, first 2 shown]
	v_mov_b32_e32 v3, 0
	v_lshl_add_u32 v5, v5, 2, 0
	v_cmp_eq_u32_e64 s[0:1], s0, v0
	v_cmp_lt_u32_e64 s[2:3], 31, v0
	v_cmp_lt_u32_e64 s[4:5], 63, v0
	;; [unrolled: 1-line block ×7, first 2 shown]
	v_or_b32_e32 v6, 0xffffff00, v0
	s_mov_b64 s[20:21], 0
	v_mov_b32_e32 v7, 0
	s_branch .LBB8_35
.LBB8_34:                               ;   in Loop: Header=BB8_35 Depth=1
	s_or_b64 exec, exec, s[22:23]
	s_waitcnt lgkmcnt(0)
	s_barrier
	ds_read_b32 v8, v3 offset:2076
	v_add_co_u32_e32 v6, vcc, 0x100, v6
	s_xor_b64 s[22:23], vcc, -1
	s_and_b64 s[22:23], exec, s[22:23]
	s_waitcnt lgkmcnt(0)
	v_add_u32_e32 v7, v8, v7
	s_or_b64 s[20:21], s[22:23], s[20:21]
	v_add_u32_e32 v4, 0x400, v4
	s_andn2_b64 exec, exec, s[20:21]
	s_cbranch_execz .LBB8_53
.LBB8_35:                               ; =>This Inner Loop Header: Depth=1
	ds_read_b32 v8, v4
	s_waitcnt lgkmcnt(0)
	s_barrier
	v_cmp_gt_i32_e32 vcc, s33, v8
	v_and_b32_e32 v10, vcc_lo, v1
	s_bcnt1_i32_b64 s17, vcc
	v_and_b32_e32 v9, vcc_hi, v2
	v_bcnt_u32_b32 v10, v10, 0
	v_bcnt_u32_b32 v9, v9, v10
	v_mov_b32_e32 v10, s17
	ds_write_b32 v5, v10 offset:2048
	s_waitcnt lgkmcnt(0)
	s_barrier
	s_and_saveexec_b64 s[22:23], s[2:3]
	s_cbranch_execnz .LBB8_44
; %bb.36:                               ;   in Loop: Header=BB8_35 Depth=1
	s_or_b64 exec, exec, s[22:23]
	s_and_saveexec_b64 s[22:23], s[4:5]
	s_cbranch_execnz .LBB8_45
.LBB8_37:                               ;   in Loop: Header=BB8_35 Depth=1
	s_or_b64 exec, exec, s[22:23]
	s_and_saveexec_b64 s[22:23], s[6:7]
	s_cbranch_execnz .LBB8_46
.LBB8_38:                               ;   in Loop: Header=BB8_35 Depth=1
	s_or_b64 exec, exec, s[22:23]
	s_and_saveexec_b64 s[22:23], s[8:9]
	s_cbranch_execnz .LBB8_47
.LBB8_39:                               ;   in Loop: Header=BB8_35 Depth=1
	s_or_b64 exec, exec, s[22:23]
	s_and_saveexec_b64 s[22:23], s[10:11]
	s_cbranch_execnz .LBB8_48
.LBB8_40:                               ;   in Loop: Header=BB8_35 Depth=1
	s_or_b64 exec, exec, s[22:23]
	s_and_saveexec_b64 s[22:23], s[12:13]
	s_cbranch_execnz .LBB8_49
.LBB8_41:                               ;   in Loop: Header=BB8_35 Depth=1
	s_or_b64 exec, exec, s[22:23]
	s_and_saveexec_b64 s[22:23], s[14:15]
	s_cbranch_execnz .LBB8_50
.LBB8_42:                               ;   in Loop: Header=BB8_35 Depth=1
	s_or_b64 exec, exec, s[22:23]
	s_and_saveexec_b64 s[22:23], vcc
	s_cbranch_execnz .LBB8_51
.LBB8_43:                               ;   in Loop: Header=BB8_35 Depth=1
	s_or_b64 exec, exec, s[22:23]
	s_and_saveexec_b64 s[22:23], s[0:1]
	s_cbranch_execz .LBB8_34
	s_branch .LBB8_52
.LBB8_44:                               ;   in Loop: Header=BB8_35 Depth=1
	ds_read_b32 v10, v3 offset:2048
	s_waitcnt lgkmcnt(0)
	v_add_u32_e32 v9, v10, v9
	s_or_b64 exec, exec, s[22:23]
	s_and_saveexec_b64 s[22:23], s[4:5]
	s_cbranch_execz .LBB8_37
.LBB8_45:                               ;   in Loop: Header=BB8_35 Depth=1
	ds_read_b32 v10, v3 offset:2052
	s_waitcnt lgkmcnt(0)
	v_add_u32_e32 v9, v10, v9
	s_or_b64 exec, exec, s[22:23]
	s_and_saveexec_b64 s[22:23], s[6:7]
	s_cbranch_execz .LBB8_38
.LBB8_46:                               ;   in Loop: Header=BB8_35 Depth=1
	ds_read_b32 v10, v3 offset:2056
	s_waitcnt lgkmcnt(0)
	v_add_u32_e32 v9, v10, v9
	s_or_b64 exec, exec, s[22:23]
	s_and_saveexec_b64 s[22:23], s[8:9]
	s_cbranch_execz .LBB8_39
.LBB8_47:                               ;   in Loop: Header=BB8_35 Depth=1
	ds_read_b32 v10, v3 offset:2060
	s_waitcnt lgkmcnt(0)
	v_add_u32_e32 v9, v10, v9
	s_or_b64 exec, exec, s[22:23]
	s_and_saveexec_b64 s[22:23], s[10:11]
	s_cbranch_execz .LBB8_40
.LBB8_48:                               ;   in Loop: Header=BB8_35 Depth=1
	ds_read_b32 v10, v3 offset:2064
	s_waitcnt lgkmcnt(0)
	v_add_u32_e32 v9, v10, v9
	s_or_b64 exec, exec, s[22:23]
	s_and_saveexec_b64 s[22:23], s[12:13]
	s_cbranch_execz .LBB8_41
.LBB8_49:                               ;   in Loop: Header=BB8_35 Depth=1
	ds_read_b32 v10, v3 offset:2068
	s_waitcnt lgkmcnt(0)
	v_add_u32_e32 v9, v10, v9
	s_or_b64 exec, exec, s[22:23]
	s_and_saveexec_b64 s[22:23], s[14:15]
	s_cbranch_execz .LBB8_42
.LBB8_50:                               ;   in Loop: Header=BB8_35 Depth=1
	ds_read_b32 v10, v3 offset:2072
	s_waitcnt lgkmcnt(0)
	v_add_u32_e32 v9, v10, v9
	s_or_b64 exec, exec, s[22:23]
	s_and_saveexec_b64 s[22:23], vcc
	s_cbranch_execz .LBB8_43
.LBB8_51:                               ;   in Loop: Header=BB8_35 Depth=1
	v_lshlrev_b32_e32 v10, 2, v7
	v_add_u32_e32 v10, 0, v10
	v_lshlrev_b32_e32 v11, 2, v9
	v_add3_u32 v10, v10, v11, -4
	ds_write_b32 v10, v8
	s_or_b64 exec, exec, s[22:23]
	s_and_saveexec_b64 s[22:23], s[0:1]
	s_cbranch_execz .LBB8_34
.LBB8_52:                               ;   in Loop: Header=BB8_35 Depth=1
	ds_write_b32 v3, v9 offset:2076
	s_branch .LBB8_34
.LBB8_53:
	s_or_b64 exec, exec, s[18:19]
	s_ashr_i32 s17, s16, 31
	s_lshl_b64 s[0:1], s[16:17], 2
	s_add_u32 s2, s24, s0
	s_addc_u32 s3, s25, s1
	s_load_dwordx2 s[0:1], s[2:3], 0x0
	s_waitcnt lgkmcnt(0)
	s_sub_i32 s6, s1, s0
	v_cmp_gt_i32_e32 vcc, s6, v0
	s_and_saveexec_b64 s[2:3], vcc
	s_cbranch_execz .LBB8_63
; %bb.54:
	s_sub_i32 s7, s0, s30
	s_and_b32 s8, s6, 7
	s_sub_i32 s0, s0, s1
	s_cmp_lt_u32 s0, -7
	s_cselect_b64 s[0:1], -1, 0
	s_and_b32 s9, s6, -8
	s_cmp_lg_u32 s8, 0
	v_cndmask_b32_e64 v1, 0, 1, s[0:1]
	s_cselect_b64 s[2:3], -1, 0
	v_cmp_ne_u32_e64 s[0:1], 1, v1
	v_cndmask_b32_e64 v1, 0, 1, s[2:3]
	s_mov_b64 s[4:5], 0
	v_cmp_ne_u32_e64 s[2:3], 1, v1
	v_mov_b32_e32 v3, s27
	s_branch .LBB8_56
.LBB8_55:                               ;   in Loop: Header=BB8_56 Depth=1
	s_waitcnt lgkmcnt(0)
	v_add_u32_e32 v4, s30, v2
	v_ashrrev_i32_e32 v2, 31, v1
	v_lshlrev_b64 v[1:2], 2, v[1:2]
	v_add_u32_e32 v0, 0x100, v0
	v_add_co_u32_e32 v1, vcc, s26, v1
	v_addc_co_u32_e32 v2, vcc, v3, v2, vcc
	v_cmp_le_i32_e32 vcc, s6, v0
	s_or_b64 s[4:5], vcc, s[4:5]
	global_store_dword v[1:2], v4, off
	s_andn2_b64 exec, exec, s[4:5]
	s_cbranch_execz .LBB8_63
.LBB8_56:                               ; =>This Loop Header: Depth=1
                                        ;     Child Loop BB8_58 Depth 2
                                        ;     Child Loop BB8_62 Depth 2
	v_lshl_add_u32 v1, v0, 2, 0
	ds_read_b32 v2, v1
	s_and_b64 vcc, exec, s[0:1]
	v_mov_b32_e32 v1, s7
	s_mov_b32 s10, 0
	s_cbranch_vccnz .LBB8_60
; %bb.57:                               ;   in Loop: Header=BB8_56 Depth=1
	s_mov_b32 s11, 0
	v_mov_b32_e32 v1, s7
.LBB8_58:                               ;   Parent Loop BB8_56 Depth=1
                                        ; =>  This Inner Loop Header: Depth=2
	v_mov_b32_e32 v10, s11
	ds_read2_b32 v[4:5], v10 offset1:1
	ds_read2_b32 v[6:7], v10 offset0:2 offset1:3
	ds_read2_b32 v[8:9], v10 offset0:4 offset1:5
	;; [unrolled: 1-line block ×3, first 2 shown]
	s_add_i32 s10, s10, 8
	s_waitcnt lgkmcnt(3)
	v_cmp_gt_i32_e32 vcc, v2, v4
	v_cndmask_b32_e64 v4, 0, 1, vcc
	s_waitcnt lgkmcnt(2)
	v_cmp_gt_i32_e32 vcc, v2, v6
	v_cndmask_b32_e64 v6, 0, 1, vcc
	;; [unrolled: 3-line block ×4, first 2 shown]
	v_cmp_gt_i32_e32 vcc, v2, v5
	v_addc_co_u32_e32 v1, vcc, v1, v4, vcc
	v_cmp_gt_i32_e32 vcc, v2, v7
	v_addc_co_u32_e32 v1, vcc, v1, v6, vcc
	;; [unrolled: 2-line block ×3, first 2 shown]
	s_add_i32 s11, s11, 32
	v_cmp_gt_i32_e32 vcc, v2, v11
	s_cmp_eq_u32 s9, s10
	v_addc_co_u32_e32 v1, vcc, v1, v10, vcc
	s_cbranch_scc0 .LBB8_58
; %bb.59:                               ;   in Loop: Header=BB8_56 Depth=1
	s_mov_b32 s10, s9
.LBB8_60:                               ;   in Loop: Header=BB8_56 Depth=1
	s_and_b64 vcc, exec, s[2:3]
	s_cbranch_vccnz .LBB8_55
; %bb.61:                               ;   in Loop: Header=BB8_56 Depth=1
	s_lshl_b32 s10, s10, 2
	s_add_i32 s10, s10, 0
	s_mov_b32 s11, s8
.LBB8_62:                               ;   Parent Loop BB8_56 Depth=1
                                        ; =>  This Inner Loop Header: Depth=2
	v_mov_b32_e32 v4, s10
	ds_read_b32 v4, v4
	s_add_i32 s10, s10, 4
	s_add_i32 s11, s11, -1
	s_cmp_lg_u32 s11, 0
	s_waitcnt lgkmcnt(0)
	v_cmp_gt_i32_e32 vcc, v2, v4
	v_addc_co_u32_e32 v1, vcc, 0, v1, vcc
	s_cbranch_scc1 .LBB8_62
	s_branch .LBB8_55
.LBB8_63:
	s_endpgm
	.section	.rodata,"a",@progbits
	.p2align	6, 0x0
	.amdhsa_kernel _ZN9rocsparseL35csrgemm_symbolic_fill_block_per_rowILj256ELj32ELj512ELj137ELj32EiiEEvT5_PKS1_S3_PKT4_S3_S6_S3_S6_S3_S6_PS1_21rocsparse_index_base_S8_S8_S8_bb
		.amdhsa_group_segment_fixed_size 0
		.amdhsa_private_segment_fixed_size 0
		.amdhsa_kernarg_size 108
		.amdhsa_user_sgpr_count 6
		.amdhsa_user_sgpr_private_segment_buffer 1
		.amdhsa_user_sgpr_dispatch_ptr 0
		.amdhsa_user_sgpr_queue_ptr 0
		.amdhsa_user_sgpr_kernarg_segment_ptr 1
		.amdhsa_user_sgpr_dispatch_id 0
		.amdhsa_user_sgpr_flat_scratch_init 0
		.amdhsa_user_sgpr_private_segment_size 0
		.amdhsa_uses_dynamic_stack 0
		.amdhsa_system_sgpr_private_segment_wavefront_offset 0
		.amdhsa_system_sgpr_workgroup_id_x 1
		.amdhsa_system_sgpr_workgroup_id_y 0
		.amdhsa_system_sgpr_workgroup_id_z 0
		.amdhsa_system_sgpr_workgroup_info 0
		.amdhsa_system_vgpr_workitem_id 0
		.amdhsa_next_free_vgpr 13
		.amdhsa_next_free_sgpr 43
		.amdhsa_reserve_vcc 1
		.amdhsa_reserve_flat_scratch 0
		.amdhsa_float_round_mode_32 0
		.amdhsa_float_round_mode_16_64 0
		.amdhsa_float_denorm_mode_32 3
		.amdhsa_float_denorm_mode_16_64 3
		.amdhsa_dx10_clamp 1
		.amdhsa_ieee_mode 1
		.amdhsa_fp16_overflow 0
		.amdhsa_exception_fp_ieee_invalid_op 0
		.amdhsa_exception_fp_denorm_src 0
		.amdhsa_exception_fp_ieee_div_zero 0
		.amdhsa_exception_fp_ieee_overflow 0
		.amdhsa_exception_fp_ieee_underflow 0
		.amdhsa_exception_fp_ieee_inexact 0
		.amdhsa_exception_int_div_zero 0
	.end_amdhsa_kernel
	.section	.text._ZN9rocsparseL35csrgemm_symbolic_fill_block_per_rowILj256ELj32ELj512ELj137ELj32EiiEEvT5_PKS1_S3_PKT4_S3_S6_S3_S6_S3_S6_PS1_21rocsparse_index_base_S8_S8_S8_bb,"axG",@progbits,_ZN9rocsparseL35csrgemm_symbolic_fill_block_per_rowILj256ELj32ELj512ELj137ELj32EiiEEvT5_PKS1_S3_PKT4_S3_S6_S3_S6_S3_S6_PS1_21rocsparse_index_base_S8_S8_S8_bb,comdat
.Lfunc_end8:
	.size	_ZN9rocsparseL35csrgemm_symbolic_fill_block_per_rowILj256ELj32ELj512ELj137ELj32EiiEEvT5_PKS1_S3_PKT4_S3_S6_S3_S6_S3_S6_PS1_21rocsparse_index_base_S8_S8_S8_bb, .Lfunc_end8-_ZN9rocsparseL35csrgemm_symbolic_fill_block_per_rowILj256ELj32ELj512ELj137ELj32EiiEEvT5_PKS1_S3_PKT4_S3_S6_S3_S6_S3_S6_PS1_21rocsparse_index_base_S8_S8_S8_bb
                                        ; -- End function
	.set _ZN9rocsparseL35csrgemm_symbolic_fill_block_per_rowILj256ELj32ELj512ELj137ELj32EiiEEvT5_PKS1_S3_PKT4_S3_S6_S3_S6_S3_S6_PS1_21rocsparse_index_base_S8_S8_S8_bb.num_vgpr, 13
	.set _ZN9rocsparseL35csrgemm_symbolic_fill_block_per_rowILj256ELj32ELj512ELj137ELj32EiiEEvT5_PKS1_S3_PKT4_S3_S6_S3_S6_S3_S6_PS1_21rocsparse_index_base_S8_S8_S8_bb.num_agpr, 0
	.set _ZN9rocsparseL35csrgemm_symbolic_fill_block_per_rowILj256ELj32ELj512ELj137ELj32EiiEEvT5_PKS1_S3_PKT4_S3_S6_S3_S6_S3_S6_PS1_21rocsparse_index_base_S8_S8_S8_bb.numbered_sgpr, 43
	.set _ZN9rocsparseL35csrgemm_symbolic_fill_block_per_rowILj256ELj32ELj512ELj137ELj32EiiEEvT5_PKS1_S3_PKT4_S3_S6_S3_S6_S3_S6_PS1_21rocsparse_index_base_S8_S8_S8_bb.num_named_barrier, 0
	.set _ZN9rocsparseL35csrgemm_symbolic_fill_block_per_rowILj256ELj32ELj512ELj137ELj32EiiEEvT5_PKS1_S3_PKT4_S3_S6_S3_S6_S3_S6_PS1_21rocsparse_index_base_S8_S8_S8_bb.private_seg_size, 0
	.set _ZN9rocsparseL35csrgemm_symbolic_fill_block_per_rowILj256ELj32ELj512ELj137ELj32EiiEEvT5_PKS1_S3_PKT4_S3_S6_S3_S6_S3_S6_PS1_21rocsparse_index_base_S8_S8_S8_bb.uses_vcc, 1
	.set _ZN9rocsparseL35csrgemm_symbolic_fill_block_per_rowILj256ELj32ELj512ELj137ELj32EiiEEvT5_PKS1_S3_PKT4_S3_S6_S3_S6_S3_S6_PS1_21rocsparse_index_base_S8_S8_S8_bb.uses_flat_scratch, 0
	.set _ZN9rocsparseL35csrgemm_symbolic_fill_block_per_rowILj256ELj32ELj512ELj137ELj32EiiEEvT5_PKS1_S3_PKT4_S3_S6_S3_S6_S3_S6_PS1_21rocsparse_index_base_S8_S8_S8_bb.has_dyn_sized_stack, 0
	.set _ZN9rocsparseL35csrgemm_symbolic_fill_block_per_rowILj256ELj32ELj512ELj137ELj32EiiEEvT5_PKS1_S3_PKT4_S3_S6_S3_S6_S3_S6_PS1_21rocsparse_index_base_S8_S8_S8_bb.has_recursion, 0
	.set _ZN9rocsparseL35csrgemm_symbolic_fill_block_per_rowILj256ELj32ELj512ELj137ELj32EiiEEvT5_PKS1_S3_PKT4_S3_S6_S3_S6_S3_S6_PS1_21rocsparse_index_base_S8_S8_S8_bb.has_indirect_call, 0
	.section	.AMDGPU.csdata,"",@progbits
; Kernel info:
; codeLenInByte = 2080
; TotalNumSgprs: 47
; NumVgprs: 13
; ScratchSize: 0
; MemoryBound: 0
; FloatMode: 240
; IeeeMode: 1
; LDSByteSize: 0 bytes/workgroup (compile time only)
; SGPRBlocks: 5
; VGPRBlocks: 3
; NumSGPRsForWavesPerEU: 47
; NumVGPRsForWavesPerEU: 13
; Occupancy: 10
; WaveLimiterHint : 1
; COMPUTE_PGM_RSRC2:SCRATCH_EN: 0
; COMPUTE_PGM_RSRC2:USER_SGPR: 6
; COMPUTE_PGM_RSRC2:TRAP_HANDLER: 0
; COMPUTE_PGM_RSRC2:TGID_X_EN: 1
; COMPUTE_PGM_RSRC2:TGID_Y_EN: 0
; COMPUTE_PGM_RSRC2:TGID_Z_EN: 0
; COMPUTE_PGM_RSRC2:TIDIG_COMP_CNT: 0
	.section	.text._ZN9rocsparseL35csrgemm_symbolic_fill_block_per_rowILj256ELj32ELj512ELj137ELj64EiiEEvT5_PKS1_S3_PKT4_S3_S6_S3_S6_S3_S6_PS1_21rocsparse_index_base_S8_S8_S8_bb,"axG",@progbits,_ZN9rocsparseL35csrgemm_symbolic_fill_block_per_rowILj256ELj32ELj512ELj137ELj64EiiEEvT5_PKS1_S3_PKT4_S3_S6_S3_S6_S3_S6_PS1_21rocsparse_index_base_S8_S8_S8_bb,comdat
	.globl	_ZN9rocsparseL35csrgemm_symbolic_fill_block_per_rowILj256ELj32ELj512ELj137ELj64EiiEEvT5_PKS1_S3_PKT4_S3_S6_S3_S6_S3_S6_PS1_21rocsparse_index_base_S8_S8_S8_bb ; -- Begin function _ZN9rocsparseL35csrgemm_symbolic_fill_block_per_rowILj256ELj32ELj512ELj137ELj64EiiEEvT5_PKS1_S3_PKT4_S3_S6_S3_S6_S3_S6_PS1_21rocsparse_index_base_S8_S8_S8_bb
	.p2align	8
	.type	_ZN9rocsparseL35csrgemm_symbolic_fill_block_per_rowILj256ELj32ELj512ELj137ELj64EiiEEvT5_PKS1_S3_PKT4_S3_S6_S3_S6_S3_S6_PS1_21rocsparse_index_base_S8_S8_S8_bb,@function
_ZN9rocsparseL35csrgemm_symbolic_fill_block_per_rowILj256ELj32ELj512ELj137ELj64EiiEEvT5_PKS1_S3_PKT4_S3_S6_S3_S6_S3_S6_PS1_21rocsparse_index_base_S8_S8_S8_bb: ; @_ZN9rocsparseL35csrgemm_symbolic_fill_block_per_rowILj256ELj32ELj512ELj137ELj64EiiEEvT5_PKS1_S3_PKT4_S3_S6_S3_S6_S3_S6_PS1_21rocsparse_index_base_S8_S8_S8_bb
; %bb.0:
	s_load_dwordx4 s[24:27], s[4:5], 0x48
	s_load_dwordx8 s[8:15], s[4:5], 0x28
	s_load_dword s33, s[4:5], 0x0
	s_load_dwordx8 s[16:23], s[4:5], 0x8
	s_movk_i32 s0, 0x200
	v_cmp_gt_u32_e64 s[0:1], s0, v0
	v_lshl_add_u32 v4, v0, 2, 0
	s_and_saveexec_b64 s[2:3], s[0:1]
	s_cbranch_execz .LBB9_3
; %bb.1:
	v_or_b32_e32 v1, 0xffffff00, v0
	v_lshl_add_u32 v2, v0, 2, 0
	s_mov_b64 s[28:29], 0
	s_waitcnt lgkmcnt(0)
	v_mov_b32_e32 v3, s33
.LBB9_2:                                ; =>This Inner Loop Header: Depth=1
	v_add_co_u32_e32 v1, vcc, 0x100, v1
	s_xor_b64 s[30:31], vcc, -1
	s_and_b64 s[30:31], exec, s[30:31]
	ds_write_b32 v2, v3
	s_or_b64 s[28:29], s[30:31], s[28:29]
	v_add_u32_e32 v2, 0x400, v2
	s_andn2_b64 exec, exec, s[28:29]
	s_cbranch_execnz .LBB9_2
.LBB9_3:
	s_or_b64 exec, exec, s[2:3]
	s_load_dword s42, s[4:5], 0x68
	s_waitcnt lgkmcnt(0)
	s_barrier
	s_load_dword s7, s[16:17], 0x0
	s_load_dwordx4 s[28:31], s[4:5], 0x58
	s_bitcmp1_b32 s42, 0
	s_cselect_b64 s[2:3], -1, 0
	s_mov_b32 s5, 0
	s_waitcnt lgkmcnt(0)
	s_add_i32 s4, s7, s6
	s_lshl_b64 s[4:5], s[4:5], 2
	s_add_u32 s4, s18, s4
	s_addc_u32 s5, s19, s5
	s_load_dword s16, s[4:5], 0x0
	s_and_b64 vcc, exec, s[2:3]
	s_cbranch_vccz .LBB9_19
; %bb.4:
	s_waitcnt lgkmcnt(0)
	s_ashr_i32 s17, s16, 31
	s_lshl_b64 s[2:3], s[16:17], 2
	s_add_u32 s2, s20, s2
	s_addc_u32 s3, s21, s3
	s_load_dwordx2 s[4:5], s[2:3], 0x0
	v_lshrrev_b32_e32 v1, 5, v0
	v_subrev_u32_e32 v1, s28, v1
	s_waitcnt lgkmcnt(0)
	s_sub_i32 s17, s5, s28
	v_add_u32_e32 v1, s4, v1
	v_cmp_gt_i32_e32 vcc, s17, v1
	s_and_saveexec_b64 s[2:3], vcc
	s_cbranch_execz .LBB9_18
; %bb.5:
	v_and_b32_e32 v2, 31, v0
	v_subrev_u32_e32 v5, s29, v2
	s_mov_b64 s[4:5], 0
	v_mov_b32_e32 v6, s23
	v_mov_b32_e32 v7, s9
	s_movk_i32 s9, 0x89
	s_branch .LBB9_7
.LBB9_6:                                ;   in Loop: Header=BB9_7 Depth=1
	s_or_b64 exec, exec, s[6:7]
	v_add_u32_e32 v1, 8, v1
	v_cmp_le_i32_e32 vcc, s17, v1
	s_or_b64 s[4:5], vcc, s[4:5]
	s_andn2_b64 exec, exec, s[4:5]
	s_cbranch_execz .LBB9_18
.LBB9_7:                                ; =>This Loop Header: Depth=1
                                        ;     Child Loop BB9_10 Depth 2
                                        ;       Child Loop BB9_13 Depth 3
	v_ashrrev_i32_e32 v2, 31, v1
	v_lshlrev_b64 v[2:3], 2, v[1:2]
	v_add_co_u32_e32 v2, vcc, s22, v2
	v_addc_co_u32_e32 v3, vcc, v6, v3, vcc
	global_load_dword v2, v[2:3], off
	s_waitcnt vmcnt(0)
	v_subrev_u32_e32 v2, s28, v2
	v_ashrrev_i32_e32 v3, 31, v2
	v_lshlrev_b64 v[2:3], 2, v[2:3]
	v_add_co_u32_e32 v2, vcc, s8, v2
	v_addc_co_u32_e32 v3, vcc, v7, v3, vcc
	global_load_dwordx2 v[2:3], v[2:3], off
	s_waitcnt vmcnt(0)
	v_subrev_u32_e32 v8, s29, v3
	v_add_u32_e32 v2, v2, v5
	v_cmp_lt_i32_e32 vcc, v2, v8
	s_and_saveexec_b64 s[6:7], vcc
	s_cbranch_execz .LBB9_6
; %bb.8:                                ;   in Loop: Header=BB9_7 Depth=1
	s_mov_b64 s[18:19], 0
	s_branch .LBB9_10
.LBB9_9:                                ;   in Loop: Header=BB9_10 Depth=2
	s_or_b64 exec, exec, s[20:21]
	v_add_u32_e32 v2, 32, v2
	v_cmp_ge_i32_e32 vcc, v2, v8
	s_or_b64 s[18:19], vcc, s[18:19]
	s_andn2_b64 exec, exec, s[18:19]
	s_cbranch_execz .LBB9_6
.LBB9_10:                               ;   Parent Loop BB9_7 Depth=1
                                        ; =>  This Loop Header: Depth=2
                                        ;       Child Loop BB9_13 Depth 3
	v_ashrrev_i32_e32 v3, 31, v2
	v_lshlrev_b64 v[9:10], 2, v[2:3]
	v_mov_b32_e32 v3, s11
	v_add_co_u32_e32 v9, vcc, s10, v9
	v_addc_co_u32_e32 v10, vcc, v3, v10, vcc
	global_load_dword v3, v[9:10], off
	s_mov_b64 s[20:21], 0
                                        ; implicit-def: $sgpr34_sgpr35
	s_waitcnt vmcnt(0)
	v_subrev_u32_e32 v3, s29, v3
	v_mul_lo_u32 v9, v3, s9
	v_and_b32_e32 v9, 0x1ff, v9
	s_branch .LBB9_13
.LBB9_11:                               ;   in Loop: Header=BB9_13 Depth=3
	s_or_b64 exec, exec, s[38:39]
	s_andn2_b64 s[34:35], s[34:35], exec
	s_and_b64 s[38:39], s[40:41], exec
	s_or_b64 s[34:35], s[34:35], s[38:39]
.LBB9_12:                               ;   in Loop: Header=BB9_13 Depth=3
	s_or_b64 exec, exec, s[36:37]
	s_xor_b64 s[36:37], s[34:35], -1
	s_and_b64 s[36:37], exec, s[36:37]
	s_or_b64 s[20:21], s[36:37], s[20:21]
	s_andn2_b64 exec, exec, s[20:21]
	s_cbranch_execz .LBB9_9
.LBB9_13:                               ;   Parent Loop BB9_7 Depth=1
                                        ;     Parent Loop BB9_10 Depth=2
                                        ; =>    This Inner Loop Header: Depth=3
	v_lshl_add_u32 v10, v9, 2, 0
	ds_read_b32 v11, v10
	s_andn2_b64 s[34:35], s[34:35], exec
	s_waitcnt lgkmcnt(0)
	v_cmp_ne_u32_e32 vcc, v11, v3
	s_and_saveexec_b64 s[36:37], vcc
	s_cbranch_execz .LBB9_12
; %bb.14:                               ;   in Loop: Header=BB9_13 Depth=3
	v_cmp_ne_u32_e32 vcc, s33, v11
	s_and_saveexec_b64 s[38:39], vcc
	s_xor_b64 s[38:39], exec, s[38:39]
; %bb.15:                               ;   in Loop: Header=BB9_13 Depth=3
	v_add_u32_e32 v9, 1, v9
	v_and_b32_e32 v9, 0x1ff, v9
                                        ; implicit-def: $vgpr10
; %bb.16:                               ;   in Loop: Header=BB9_13 Depth=3
	s_or_saveexec_b64 s[38:39], s[38:39]
	s_mov_b64 s[40:41], -1
	s_xor_b64 exec, exec, s[38:39]
	s_cbranch_execz .LBB9_11
; %bb.17:                               ;   in Loop: Header=BB9_13 Depth=3
	v_mov_b32_e32 v11, s33
	ds_cmpst_rtn_b32 v10, v10, v11, v3
	s_waitcnt lgkmcnt(0)
	v_cmp_ne_u32_e32 vcc, s33, v10
	s_orn2_b64 s[40:41], vcc, exec
	s_branch .LBB9_11
.LBB9_18:
	s_or_b64 exec, exec, s[2:3]
.LBB9_19:
	s_bfe_u32 s2, s42, 0x10008
	s_cmp_eq_u32 s2, 0
	s_cbranch_scc1 .LBB9_32
; %bb.20:
	s_waitcnt lgkmcnt(0)
	s_ashr_i32 s17, s16, 31
	s_lshl_b64 s[2:3], s[16:17], 2
	s_add_u32 s2, s12, s2
	s_addc_u32 s3, s13, s3
	s_load_dwordx2 s[4:5], s[2:3], 0x0
	v_subrev_u32_e32 v1, s31, v0
	s_waitcnt lgkmcnt(0)
	s_sub_i32 s17, s5, s31
	v_add_u32_e32 v1, s4, v1
	v_cmp_gt_i32_e32 vcc, s17, v1
	s_and_saveexec_b64 s[2:3], vcc
	s_cbranch_execz .LBB9_31
; %bb.21:
	s_mov_b64 s[4:5], 0
	v_mov_b32_e32 v3, s15
	s_movk_i32 s15, 0x89
	s_branch .LBB9_23
.LBB9_22:                               ;   in Loop: Header=BB9_23 Depth=1
	s_or_b64 exec, exec, s[6:7]
	v_add_u32_e32 v1, 0x100, v1
	v_cmp_le_i32_e32 vcc, s17, v1
	s_or_b64 s[4:5], vcc, s[4:5]
	s_andn2_b64 exec, exec, s[4:5]
	s_cbranch_execz .LBB9_31
.LBB9_23:                               ; =>This Loop Header: Depth=1
                                        ;     Child Loop BB9_26 Depth 2
	v_ashrrev_i32_e32 v2, 31, v1
	v_lshlrev_b64 v[5:6], 2, v[1:2]
	s_mov_b64 s[6:7], 0
	v_add_co_u32_e32 v5, vcc, s14, v5
	v_addc_co_u32_e32 v6, vcc, v3, v6, vcc
	global_load_dword v2, v[5:6], off
                                        ; implicit-def: $sgpr8_sgpr9
	s_waitcnt vmcnt(0)
	v_subrev_u32_e32 v2, s31, v2
	v_mul_lo_u32 v5, v2, s15
	v_and_b32_e32 v5, 0x1ff, v5
	s_branch .LBB9_26
.LBB9_24:                               ;   in Loop: Header=BB9_26 Depth=2
	s_or_b64 exec, exec, s[12:13]
	s_andn2_b64 s[8:9], s[8:9], exec
	s_and_b64 s[12:13], s[18:19], exec
	s_or_b64 s[8:9], s[8:9], s[12:13]
.LBB9_25:                               ;   in Loop: Header=BB9_26 Depth=2
	s_or_b64 exec, exec, s[10:11]
	s_xor_b64 s[10:11], s[8:9], -1
	s_and_b64 s[10:11], exec, s[10:11]
	s_or_b64 s[6:7], s[10:11], s[6:7]
	s_andn2_b64 exec, exec, s[6:7]
	s_cbranch_execz .LBB9_22
.LBB9_26:                               ;   Parent Loop BB9_23 Depth=1
                                        ; =>  This Inner Loop Header: Depth=2
	v_lshl_add_u32 v6, v5, 2, 0
	ds_read_b32 v7, v6
	s_andn2_b64 s[8:9], s[8:9], exec
	s_waitcnt lgkmcnt(0)
	v_cmp_ne_u32_e32 vcc, v7, v2
	s_and_saveexec_b64 s[10:11], vcc
	s_cbranch_execz .LBB9_25
; %bb.27:                               ;   in Loop: Header=BB9_26 Depth=2
	v_cmp_ne_u32_e32 vcc, s33, v7
	s_and_saveexec_b64 s[12:13], vcc
	s_xor_b64 s[12:13], exec, s[12:13]
; %bb.28:                               ;   in Loop: Header=BB9_26 Depth=2
	v_add_u32_e32 v5, 1, v5
	v_and_b32_e32 v5, 0x1ff, v5
                                        ; implicit-def: $vgpr6
; %bb.29:                               ;   in Loop: Header=BB9_26 Depth=2
	s_or_saveexec_b64 s[12:13], s[12:13]
	s_mov_b64 s[18:19], -1
	s_xor_b64 exec, exec, s[12:13]
	s_cbranch_execz .LBB9_24
; %bb.30:                               ;   in Loop: Header=BB9_26 Depth=2
	v_mov_b32_e32 v7, s33
	ds_cmpst_rtn_b32 v6, v6, v7, v2
	s_waitcnt lgkmcnt(0)
	v_cmp_ne_u32_e32 vcc, s33, v6
	s_orn2_b64 s[18:19], vcc, exec
	s_branch .LBB9_24
.LBB9_31:
	s_or_b64 exec, exec, s[2:3]
.LBB9_32:
	s_waitcnt lgkmcnt(0)
	s_barrier
	s_and_saveexec_b64 s[8:9], s[0:1]
	s_cbranch_execz .LBB9_45
; %bb.33:
	v_mbcnt_lo_u32_b32 v1, -1, 0
	v_mbcnt_hi_u32_b32 v1, -1, v1
	v_sub_u32_e32 v1, 63, v1
	v_lshrrev_b32_e32 v5, 4, v0
	v_lshrrev_b64 v[1:2], v1, -1
	v_and_b32_e32 v5, 12, v5
	s_movk_i32 s0, 0xff
	s_movk_i32 s4, 0x7f
	;; [unrolled: 1-line block ×3, first 2 shown]
	v_mov_b32_e32 v3, 0
	v_add_u32_e32 v5, 0, v5
	v_cmp_eq_u32_e64 s[0:1], s0, v0
	v_cmp_lt_u32_e64 s[2:3], 63, v0
	v_cmp_lt_u32_e64 s[4:5], s4, v0
	;; [unrolled: 1-line block ×3, first 2 shown]
	v_or_b32_e32 v6, 0xffffff00, v0
	s_mov_b64 s[10:11], 0
	v_mov_b32_e32 v7, 0
	s_branch .LBB9_35
.LBB9_34:                               ;   in Loop: Header=BB9_35 Depth=1
	s_or_b64 exec, exec, s[12:13]
	s_waitcnt lgkmcnt(0)
	s_barrier
	ds_read_b32 v8, v3 offset:2060
	v_add_co_u32_e32 v6, vcc, 0x100, v6
	s_xor_b64 s[12:13], vcc, -1
	s_and_b64 s[12:13], exec, s[12:13]
	s_waitcnt lgkmcnt(0)
	v_add_u32_e32 v7, v8, v7
	s_or_b64 s[10:11], s[12:13], s[10:11]
	v_add_u32_e32 v4, 0x400, v4
	s_andn2_b64 exec, exec, s[10:11]
	s_cbranch_execz .LBB9_45
.LBB9_35:                               ; =>This Inner Loop Header: Depth=1
	ds_read_b32 v8, v4
	s_waitcnt lgkmcnt(0)
	s_barrier
	v_cmp_gt_i32_e32 vcc, s33, v8
	v_and_b32_e32 v10, vcc_lo, v1
	s_bcnt1_i32_b64 s12, vcc
	v_and_b32_e32 v9, vcc_hi, v2
	v_bcnt_u32_b32 v10, v10, 0
	v_bcnt_u32_b32 v9, v9, v10
	v_mov_b32_e32 v10, s12
	ds_write_b32 v5, v10 offset:2048
	s_waitcnt lgkmcnt(0)
	s_barrier
	s_and_saveexec_b64 s[12:13], s[2:3]
	s_cbranch_execnz .LBB9_40
; %bb.36:                               ;   in Loop: Header=BB9_35 Depth=1
	s_or_b64 exec, exec, s[12:13]
	s_and_saveexec_b64 s[12:13], s[4:5]
	s_cbranch_execnz .LBB9_41
.LBB9_37:                               ;   in Loop: Header=BB9_35 Depth=1
	s_or_b64 exec, exec, s[12:13]
	s_and_saveexec_b64 s[12:13], s[6:7]
	s_cbranch_execnz .LBB9_42
.LBB9_38:                               ;   in Loop: Header=BB9_35 Depth=1
	s_or_b64 exec, exec, s[12:13]
	s_and_saveexec_b64 s[12:13], vcc
	s_cbranch_execnz .LBB9_43
.LBB9_39:                               ;   in Loop: Header=BB9_35 Depth=1
	s_or_b64 exec, exec, s[12:13]
	s_and_saveexec_b64 s[12:13], s[0:1]
	s_cbranch_execz .LBB9_34
	s_branch .LBB9_44
.LBB9_40:                               ;   in Loop: Header=BB9_35 Depth=1
	ds_read_b32 v10, v3 offset:2048
	s_waitcnt lgkmcnt(0)
	v_add_u32_e32 v9, v10, v9
	s_or_b64 exec, exec, s[12:13]
	s_and_saveexec_b64 s[12:13], s[4:5]
	s_cbranch_execz .LBB9_37
.LBB9_41:                               ;   in Loop: Header=BB9_35 Depth=1
	ds_read_b32 v10, v3 offset:2052
	s_waitcnt lgkmcnt(0)
	v_add_u32_e32 v9, v10, v9
	s_or_b64 exec, exec, s[12:13]
	s_and_saveexec_b64 s[12:13], s[6:7]
	s_cbranch_execz .LBB9_38
.LBB9_42:                               ;   in Loop: Header=BB9_35 Depth=1
	ds_read_b32 v10, v3 offset:2056
	s_waitcnt lgkmcnt(0)
	v_add_u32_e32 v9, v10, v9
	s_or_b64 exec, exec, s[12:13]
	s_and_saveexec_b64 s[12:13], vcc
	s_cbranch_execz .LBB9_39
.LBB9_43:                               ;   in Loop: Header=BB9_35 Depth=1
	v_lshlrev_b32_e32 v10, 2, v7
	v_add_u32_e32 v10, 0, v10
	v_lshlrev_b32_e32 v11, 2, v9
	v_add3_u32 v10, v10, v11, -4
	ds_write_b32 v10, v8
	s_or_b64 exec, exec, s[12:13]
	s_and_saveexec_b64 s[12:13], s[0:1]
	s_cbranch_execz .LBB9_34
.LBB9_44:                               ;   in Loop: Header=BB9_35 Depth=1
	ds_write_b32 v3, v9 offset:2060
	s_branch .LBB9_34
.LBB9_45:
	s_or_b64 exec, exec, s[8:9]
	s_ashr_i32 s17, s16, 31
	s_lshl_b64 s[0:1], s[16:17], 2
	s_add_u32 s2, s24, s0
	s_addc_u32 s3, s25, s1
	s_load_dwordx2 s[0:1], s[2:3], 0x0
	s_waitcnt lgkmcnt(0)
	s_sub_i32 s6, s1, s0
	v_cmp_gt_i32_e32 vcc, s6, v0
	s_and_saveexec_b64 s[2:3], vcc
	s_cbranch_execz .LBB9_55
; %bb.46:
	s_sub_i32 s7, s0, s30
	s_and_b32 s8, s6, 7
	s_sub_i32 s0, s0, s1
	s_cmp_lt_u32 s0, -7
	s_cselect_b64 s[0:1], -1, 0
	s_and_b32 s9, s6, -8
	s_cmp_lg_u32 s8, 0
	v_cndmask_b32_e64 v1, 0, 1, s[0:1]
	s_cselect_b64 s[2:3], -1, 0
	v_cmp_ne_u32_e64 s[0:1], 1, v1
	v_cndmask_b32_e64 v1, 0, 1, s[2:3]
	s_mov_b64 s[4:5], 0
	v_cmp_ne_u32_e64 s[2:3], 1, v1
	v_mov_b32_e32 v3, s27
	s_branch .LBB9_48
.LBB9_47:                               ;   in Loop: Header=BB9_48 Depth=1
	s_waitcnt lgkmcnt(0)
	v_add_u32_e32 v4, s30, v2
	v_ashrrev_i32_e32 v2, 31, v1
	v_lshlrev_b64 v[1:2], 2, v[1:2]
	v_add_u32_e32 v0, 0x100, v0
	v_add_co_u32_e32 v1, vcc, s26, v1
	v_addc_co_u32_e32 v2, vcc, v3, v2, vcc
	v_cmp_le_i32_e32 vcc, s6, v0
	s_or_b64 s[4:5], vcc, s[4:5]
	global_store_dword v[1:2], v4, off
	s_andn2_b64 exec, exec, s[4:5]
	s_cbranch_execz .LBB9_55
.LBB9_48:                               ; =>This Loop Header: Depth=1
                                        ;     Child Loop BB9_50 Depth 2
                                        ;     Child Loop BB9_54 Depth 2
	v_lshl_add_u32 v1, v0, 2, 0
	ds_read_b32 v2, v1
	s_and_b64 vcc, exec, s[0:1]
	v_mov_b32_e32 v1, s7
	s_mov_b32 s10, 0
	s_cbranch_vccnz .LBB9_52
; %bb.49:                               ;   in Loop: Header=BB9_48 Depth=1
	s_mov_b32 s11, 0
	v_mov_b32_e32 v1, s7
.LBB9_50:                               ;   Parent Loop BB9_48 Depth=1
                                        ; =>  This Inner Loop Header: Depth=2
	v_mov_b32_e32 v10, s11
	ds_read2_b32 v[4:5], v10 offset1:1
	ds_read2_b32 v[6:7], v10 offset0:2 offset1:3
	ds_read2_b32 v[8:9], v10 offset0:4 offset1:5
	;; [unrolled: 1-line block ×3, first 2 shown]
	s_add_i32 s10, s10, 8
	s_waitcnt lgkmcnt(3)
	v_cmp_gt_i32_e32 vcc, v2, v4
	v_cndmask_b32_e64 v4, 0, 1, vcc
	s_waitcnt lgkmcnt(2)
	v_cmp_gt_i32_e32 vcc, v2, v6
	v_cndmask_b32_e64 v6, 0, 1, vcc
	;; [unrolled: 3-line block ×4, first 2 shown]
	v_cmp_gt_i32_e32 vcc, v2, v5
	v_addc_co_u32_e32 v1, vcc, v1, v4, vcc
	v_cmp_gt_i32_e32 vcc, v2, v7
	v_addc_co_u32_e32 v1, vcc, v1, v6, vcc
	v_cmp_gt_i32_e32 vcc, v2, v9
	v_addc_co_u32_e32 v1, vcc, v1, v8, vcc
	s_add_i32 s11, s11, 32
	v_cmp_gt_i32_e32 vcc, v2, v11
	s_cmp_eq_u32 s9, s10
	v_addc_co_u32_e32 v1, vcc, v1, v10, vcc
	s_cbranch_scc0 .LBB9_50
; %bb.51:                               ;   in Loop: Header=BB9_48 Depth=1
	s_mov_b32 s10, s9
.LBB9_52:                               ;   in Loop: Header=BB9_48 Depth=1
	s_and_b64 vcc, exec, s[2:3]
	s_cbranch_vccnz .LBB9_47
; %bb.53:                               ;   in Loop: Header=BB9_48 Depth=1
	s_lshl_b32 s10, s10, 2
	s_add_i32 s10, s10, 0
	s_mov_b32 s11, s8
.LBB9_54:                               ;   Parent Loop BB9_48 Depth=1
                                        ; =>  This Inner Loop Header: Depth=2
	v_mov_b32_e32 v4, s10
	ds_read_b32 v4, v4
	s_add_i32 s10, s10, 4
	s_add_i32 s11, s11, -1
	s_cmp_lg_u32 s11, 0
	s_waitcnt lgkmcnt(0)
	v_cmp_gt_i32_e32 vcc, v2, v4
	v_addc_co_u32_e32 v1, vcc, 0, v1, vcc
	s_cbranch_scc1 .LBB9_54
	s_branch .LBB9_47
.LBB9_55:
	s_endpgm
	.section	.rodata,"a",@progbits
	.p2align	6, 0x0
	.amdhsa_kernel _ZN9rocsparseL35csrgemm_symbolic_fill_block_per_rowILj256ELj32ELj512ELj137ELj64EiiEEvT5_PKS1_S3_PKT4_S3_S6_S3_S6_S3_S6_PS1_21rocsparse_index_base_S8_S8_S8_bb
		.amdhsa_group_segment_fixed_size 0
		.amdhsa_private_segment_fixed_size 0
		.amdhsa_kernarg_size 108
		.amdhsa_user_sgpr_count 6
		.amdhsa_user_sgpr_private_segment_buffer 1
		.amdhsa_user_sgpr_dispatch_ptr 0
		.amdhsa_user_sgpr_queue_ptr 0
		.amdhsa_user_sgpr_kernarg_segment_ptr 1
		.amdhsa_user_sgpr_dispatch_id 0
		.amdhsa_user_sgpr_flat_scratch_init 0
		.amdhsa_user_sgpr_private_segment_size 0
		.amdhsa_uses_dynamic_stack 0
		.amdhsa_system_sgpr_private_segment_wavefront_offset 0
		.amdhsa_system_sgpr_workgroup_id_x 1
		.amdhsa_system_sgpr_workgroup_id_y 0
		.amdhsa_system_sgpr_workgroup_id_z 0
		.amdhsa_system_sgpr_workgroup_info 0
		.amdhsa_system_vgpr_workitem_id 0
		.amdhsa_next_free_vgpr 12
		.amdhsa_next_free_sgpr 43
		.amdhsa_reserve_vcc 1
		.amdhsa_reserve_flat_scratch 0
		.amdhsa_float_round_mode_32 0
		.amdhsa_float_round_mode_16_64 0
		.amdhsa_float_denorm_mode_32 3
		.amdhsa_float_denorm_mode_16_64 3
		.amdhsa_dx10_clamp 1
		.amdhsa_ieee_mode 1
		.amdhsa_fp16_overflow 0
		.amdhsa_exception_fp_ieee_invalid_op 0
		.amdhsa_exception_fp_denorm_src 0
		.amdhsa_exception_fp_ieee_div_zero 0
		.amdhsa_exception_fp_ieee_overflow 0
		.amdhsa_exception_fp_ieee_underflow 0
		.amdhsa_exception_fp_ieee_inexact 0
		.amdhsa_exception_int_div_zero 0
	.end_amdhsa_kernel
	.section	.text._ZN9rocsparseL35csrgemm_symbolic_fill_block_per_rowILj256ELj32ELj512ELj137ELj64EiiEEvT5_PKS1_S3_PKT4_S3_S6_S3_S6_S3_S6_PS1_21rocsparse_index_base_S8_S8_S8_bb,"axG",@progbits,_ZN9rocsparseL35csrgemm_symbolic_fill_block_per_rowILj256ELj32ELj512ELj137ELj64EiiEEvT5_PKS1_S3_PKT4_S3_S6_S3_S6_S3_S6_PS1_21rocsparse_index_base_S8_S8_S8_bb,comdat
.Lfunc_end9:
	.size	_ZN9rocsparseL35csrgemm_symbolic_fill_block_per_rowILj256ELj32ELj512ELj137ELj64EiiEEvT5_PKS1_S3_PKT4_S3_S6_S3_S6_S3_S6_PS1_21rocsparse_index_base_S8_S8_S8_bb, .Lfunc_end9-_ZN9rocsparseL35csrgemm_symbolic_fill_block_per_rowILj256ELj32ELj512ELj137ELj64EiiEEvT5_PKS1_S3_PKT4_S3_S6_S3_S6_S3_S6_PS1_21rocsparse_index_base_S8_S8_S8_bb
                                        ; -- End function
	.set _ZN9rocsparseL35csrgemm_symbolic_fill_block_per_rowILj256ELj32ELj512ELj137ELj64EiiEEvT5_PKS1_S3_PKT4_S3_S6_S3_S6_S3_S6_PS1_21rocsparse_index_base_S8_S8_S8_bb.num_vgpr, 12
	.set _ZN9rocsparseL35csrgemm_symbolic_fill_block_per_rowILj256ELj32ELj512ELj137ELj64EiiEEvT5_PKS1_S3_PKT4_S3_S6_S3_S6_S3_S6_PS1_21rocsparse_index_base_S8_S8_S8_bb.num_agpr, 0
	.set _ZN9rocsparseL35csrgemm_symbolic_fill_block_per_rowILj256ELj32ELj512ELj137ELj64EiiEEvT5_PKS1_S3_PKT4_S3_S6_S3_S6_S3_S6_PS1_21rocsparse_index_base_S8_S8_S8_bb.numbered_sgpr, 43
	.set _ZN9rocsparseL35csrgemm_symbolic_fill_block_per_rowILj256ELj32ELj512ELj137ELj64EiiEEvT5_PKS1_S3_PKT4_S3_S6_S3_S6_S3_S6_PS1_21rocsparse_index_base_S8_S8_S8_bb.num_named_barrier, 0
	.set _ZN9rocsparseL35csrgemm_symbolic_fill_block_per_rowILj256ELj32ELj512ELj137ELj64EiiEEvT5_PKS1_S3_PKT4_S3_S6_S3_S6_S3_S6_PS1_21rocsparse_index_base_S8_S8_S8_bb.private_seg_size, 0
	.set _ZN9rocsparseL35csrgemm_symbolic_fill_block_per_rowILj256ELj32ELj512ELj137ELj64EiiEEvT5_PKS1_S3_PKT4_S3_S6_S3_S6_S3_S6_PS1_21rocsparse_index_base_S8_S8_S8_bb.uses_vcc, 1
	.set _ZN9rocsparseL35csrgemm_symbolic_fill_block_per_rowILj256ELj32ELj512ELj137ELj64EiiEEvT5_PKS1_S3_PKT4_S3_S6_S3_S6_S3_S6_PS1_21rocsparse_index_base_S8_S8_S8_bb.uses_flat_scratch, 0
	.set _ZN9rocsparseL35csrgemm_symbolic_fill_block_per_rowILj256ELj32ELj512ELj137ELj64EiiEEvT5_PKS1_S3_PKT4_S3_S6_S3_S6_S3_S6_PS1_21rocsparse_index_base_S8_S8_S8_bb.has_dyn_sized_stack, 0
	.set _ZN9rocsparseL35csrgemm_symbolic_fill_block_per_rowILj256ELj32ELj512ELj137ELj64EiiEEvT5_PKS1_S3_PKT4_S3_S6_S3_S6_S3_S6_PS1_21rocsparse_index_base_S8_S8_S8_bb.has_recursion, 0
	.set _ZN9rocsparseL35csrgemm_symbolic_fill_block_per_rowILj256ELj32ELj512ELj137ELj64EiiEEvT5_PKS1_S3_PKT4_S3_S6_S3_S6_S3_S6_PS1_21rocsparse_index_base_S8_S8_S8_bb.has_indirect_call, 0
	.section	.AMDGPU.csdata,"",@progbits
; Kernel info:
; codeLenInByte = 1880
; TotalNumSgprs: 47
; NumVgprs: 12
; ScratchSize: 0
; MemoryBound: 0
; FloatMode: 240
; IeeeMode: 1
; LDSByteSize: 0 bytes/workgroup (compile time only)
; SGPRBlocks: 5
; VGPRBlocks: 2
; NumSGPRsForWavesPerEU: 47
; NumVGPRsForWavesPerEU: 12
; Occupancy: 10
; WaveLimiterHint : 1
; COMPUTE_PGM_RSRC2:SCRATCH_EN: 0
; COMPUTE_PGM_RSRC2:USER_SGPR: 6
; COMPUTE_PGM_RSRC2:TRAP_HANDLER: 0
; COMPUTE_PGM_RSRC2:TGID_X_EN: 1
; COMPUTE_PGM_RSRC2:TGID_Y_EN: 0
; COMPUTE_PGM_RSRC2:TGID_Z_EN: 0
; COMPUTE_PGM_RSRC2:TIDIG_COMP_CNT: 0
	.section	.text._ZN9rocsparseL35csrgemm_symbolic_fill_block_per_rowILj512ELj32ELj1024ELj137ELj32EiiEEvT5_PKS1_S3_PKT4_S3_S6_S3_S6_S3_S6_PS1_21rocsparse_index_base_S8_S8_S8_bb,"axG",@progbits,_ZN9rocsparseL35csrgemm_symbolic_fill_block_per_rowILj512ELj32ELj1024ELj137ELj32EiiEEvT5_PKS1_S3_PKT4_S3_S6_S3_S6_S3_S6_PS1_21rocsparse_index_base_S8_S8_S8_bb,comdat
	.globl	_ZN9rocsparseL35csrgemm_symbolic_fill_block_per_rowILj512ELj32ELj1024ELj137ELj32EiiEEvT5_PKS1_S3_PKT4_S3_S6_S3_S6_S3_S6_PS1_21rocsparse_index_base_S8_S8_S8_bb ; -- Begin function _ZN9rocsparseL35csrgemm_symbolic_fill_block_per_rowILj512ELj32ELj1024ELj137ELj32EiiEEvT5_PKS1_S3_PKT4_S3_S6_S3_S6_S3_S6_PS1_21rocsparse_index_base_S8_S8_S8_bb
	.p2align	8
	.type	_ZN9rocsparseL35csrgemm_symbolic_fill_block_per_rowILj512ELj32ELj1024ELj137ELj32EiiEEvT5_PKS1_S3_PKT4_S3_S6_S3_S6_S3_S6_PS1_21rocsparse_index_base_S8_S8_S8_bb,@function
_ZN9rocsparseL35csrgemm_symbolic_fill_block_per_rowILj512ELj32ELj1024ELj137ELj32EiiEEvT5_PKS1_S3_PKT4_S3_S6_S3_S6_S3_S6_PS1_21rocsparse_index_base_S8_S8_S8_bb: ; @_ZN9rocsparseL35csrgemm_symbolic_fill_block_per_rowILj512ELj32ELj1024ELj137ELj32EiiEEvT5_PKS1_S3_PKT4_S3_S6_S3_S6_S3_S6_PS1_21rocsparse_index_base_S8_S8_S8_bb
; %bb.0:
	s_load_dwordx4 s[36:39], s[4:5], 0x48
	s_load_dwordx8 s[8:15], s[4:5], 0x28
	s_load_dword s33, s[4:5], 0x0
	s_load_dwordx8 s[16:23], s[4:5], 0x8
	v_or_b32_e32 v4, 0xfffffe00, v0
	v_lshl_add_u32 v5, v0, 2, 0
	s_mov_b64 s[0:1], 0
	s_waitcnt lgkmcnt(0)
	v_mov_b32_e32 v1, s33
	v_mov_b32_e32 v2, v5
	;; [unrolled: 1-line block ×3, first 2 shown]
.LBB10_1:                               ; =>This Inner Loop Header: Depth=1
	v_add_co_u32_e32 v3, vcc, 0x200, v3
	s_xor_b64 s[2:3], vcc, -1
	s_and_b64 s[2:3], exec, s[2:3]
	ds_write_b32 v2, v1
	s_or_b64 s[0:1], s[2:3], s[0:1]
	v_add_u32_e32 v2, 0x800, v2
	s_andn2_b64 exec, exec, s[0:1]
	s_cbranch_execnz .LBB10_1
; %bb.2:
	s_or_b64 exec, exec, s[0:1]
	s_load_dword s28, s[4:5], 0x68
	s_waitcnt lgkmcnt(0)
	s_barrier
	s_load_dword s2, s[16:17], 0x0
	s_load_dwordx4 s[40:43], s[4:5], 0x58
	s_bitcmp1_b32 s28, 0
	s_cselect_b64 s[0:1], -1, 0
	s_mov_b32 s3, 0
	s_waitcnt lgkmcnt(0)
	s_add_i32 s2, s2, s6
	s_lshl_b64 s[2:3], s[2:3], 2
	s_add_u32 s2, s18, s2
	s_addc_u32 s3, s19, s3
	s_load_dword s34, s[2:3], 0x0
	v_lshrrev_b32_e32 v6, 5, v0
	s_and_b64 vcc, exec, s[0:1]
	s_cbranch_vccz .LBB10_18
; %bb.3:
	s_waitcnt lgkmcnt(0)
	s_ashr_i32 s35, s34, 31
	s_lshl_b64 s[0:1], s[34:35], 2
	s_add_u32 s0, s20, s0
	s_addc_u32 s1, s21, s1
	s_load_dwordx2 s[2:3], s[0:1], 0x0
	v_subrev_u32_e32 v1, s40, v6
	s_waitcnt lgkmcnt(0)
	s_sub_i32 s29, s3, s40
	v_add_u32_e32 v1, s2, v1
	v_cmp_gt_i32_e32 vcc, s29, v1
	s_and_saveexec_b64 s[0:1], vcc
	s_cbranch_execz .LBB10_17
; %bb.4:
	v_and_b32_e32 v2, 31, v0
	v_subrev_u32_e32 v7, s41, v2
	s_mov_b64 s[2:3], 0
	v_mov_b32_e32 v8, s23
	v_mov_b32_e32 v9, s9
	s_movk_i32 s9, 0x89
	s_branch .LBB10_6
.LBB10_5:                               ;   in Loop: Header=BB10_6 Depth=1
	s_or_b64 exec, exec, s[4:5]
	v_add_u32_e32 v1, 16, v1
	v_cmp_le_i32_e32 vcc, s29, v1
	s_or_b64 s[2:3], vcc, s[2:3]
	s_andn2_b64 exec, exec, s[2:3]
	s_cbranch_execz .LBB10_17
.LBB10_6:                               ; =>This Loop Header: Depth=1
                                        ;     Child Loop BB10_9 Depth 2
                                        ;       Child Loop BB10_12 Depth 3
	v_ashrrev_i32_e32 v2, 31, v1
	v_lshlrev_b64 v[2:3], 2, v[1:2]
	v_add_co_u32_e32 v2, vcc, s22, v2
	v_addc_co_u32_e32 v3, vcc, v8, v3, vcc
	global_load_dword v2, v[2:3], off
	s_waitcnt vmcnt(0)
	v_subrev_u32_e32 v2, s40, v2
	v_ashrrev_i32_e32 v3, 31, v2
	v_lshlrev_b64 v[2:3], 2, v[2:3]
	v_add_co_u32_e32 v2, vcc, s8, v2
	v_addc_co_u32_e32 v3, vcc, v9, v3, vcc
	global_load_dwordx2 v[2:3], v[2:3], off
	s_waitcnt vmcnt(0)
	v_subrev_u32_e32 v10, s41, v3
	v_add_u32_e32 v2, v2, v7
	v_cmp_lt_i32_e32 vcc, v2, v10
	s_and_saveexec_b64 s[4:5], vcc
	s_cbranch_execz .LBB10_5
; %bb.7:                                ;   in Loop: Header=BB10_6 Depth=1
	s_mov_b64 s[6:7], 0
	s_branch .LBB10_9
.LBB10_8:                               ;   in Loop: Header=BB10_9 Depth=2
	s_or_b64 exec, exec, s[16:17]
	v_add_u32_e32 v2, 32, v2
	v_cmp_ge_i32_e32 vcc, v2, v10
	s_or_b64 s[6:7], vcc, s[6:7]
	s_andn2_b64 exec, exec, s[6:7]
	s_cbranch_execz .LBB10_5
.LBB10_9:                               ;   Parent Loop BB10_6 Depth=1
                                        ; =>  This Loop Header: Depth=2
                                        ;       Child Loop BB10_12 Depth 3
	v_ashrrev_i32_e32 v3, 31, v2
	v_lshlrev_b64 v[11:12], 2, v[2:3]
	v_mov_b32_e32 v3, s11
	v_add_co_u32_e32 v11, vcc, s10, v11
	v_addc_co_u32_e32 v12, vcc, v3, v12, vcc
	global_load_dword v3, v[11:12], off
	s_mov_b64 s[16:17], 0
                                        ; implicit-def: $sgpr18_sgpr19
	s_waitcnt vmcnt(0)
	v_subrev_u32_e32 v3, s41, v3
	v_mul_lo_u32 v11, v3, s9
	v_and_b32_e32 v11, 0x3ff, v11
	s_branch .LBB10_12
.LBB10_10:                              ;   in Loop: Header=BB10_12 Depth=3
	s_or_b64 exec, exec, s[24:25]
	s_andn2_b64 s[18:19], s[18:19], exec
	s_and_b64 s[24:25], s[26:27], exec
	s_or_b64 s[18:19], s[18:19], s[24:25]
.LBB10_11:                              ;   in Loop: Header=BB10_12 Depth=3
	s_or_b64 exec, exec, s[20:21]
	s_xor_b64 s[20:21], s[18:19], -1
	s_and_b64 s[20:21], exec, s[20:21]
	s_or_b64 s[16:17], s[20:21], s[16:17]
	s_andn2_b64 exec, exec, s[16:17]
	s_cbranch_execz .LBB10_8
.LBB10_12:                              ;   Parent Loop BB10_6 Depth=1
                                        ;     Parent Loop BB10_9 Depth=2
                                        ; =>    This Inner Loop Header: Depth=3
	v_lshl_add_u32 v12, v11, 2, 0
	ds_read_b32 v13, v12
	s_andn2_b64 s[18:19], s[18:19], exec
	s_waitcnt lgkmcnt(0)
	v_cmp_ne_u32_e32 vcc, v13, v3
	s_and_saveexec_b64 s[20:21], vcc
	s_cbranch_execz .LBB10_11
; %bb.13:                               ;   in Loop: Header=BB10_12 Depth=3
	v_cmp_ne_u32_e32 vcc, s33, v13
	s_and_saveexec_b64 s[24:25], vcc
	s_xor_b64 s[24:25], exec, s[24:25]
; %bb.14:                               ;   in Loop: Header=BB10_12 Depth=3
	v_add_u32_e32 v11, 1, v11
	v_and_b32_e32 v11, 0x3ff, v11
                                        ; implicit-def: $vgpr12
; %bb.15:                               ;   in Loop: Header=BB10_12 Depth=3
	s_or_saveexec_b64 s[24:25], s[24:25]
	s_mov_b64 s[26:27], -1
	s_xor_b64 exec, exec, s[24:25]
	s_cbranch_execz .LBB10_10
; %bb.16:                               ;   in Loop: Header=BB10_12 Depth=3
	v_mov_b32_e32 v13, s33
	ds_cmpst_rtn_b32 v12, v12, v13, v3
	s_waitcnt lgkmcnt(0)
	v_cmp_ne_u32_e32 vcc, s33, v12
	s_orn2_b64 s[26:27], vcc, exec
	s_branch .LBB10_10
.LBB10_17:
	s_or_b64 exec, exec, s[0:1]
.LBB10_18:
	s_bfe_u32 s0, s28, 0x10008
	s_cmp_eq_u32 s0, 0
	s_cbranch_scc1 .LBB10_31
; %bb.19:
	s_waitcnt lgkmcnt(0)
	s_ashr_i32 s35, s34, 31
	s_lshl_b64 s[0:1], s[34:35], 2
	s_add_u32 s0, s12, s0
	s_addc_u32 s1, s13, s1
	s_load_dwordx2 s[2:3], s[0:1], 0x0
	v_subrev_u32_e32 v1, s43, v0
	s_waitcnt lgkmcnt(0)
	s_sub_i32 s16, s3, s43
	v_add_u32_e32 v1, s2, v1
	v_cmp_gt_i32_e32 vcc, s16, v1
	s_and_saveexec_b64 s[0:1], vcc
	s_cbranch_execz .LBB10_30
; %bb.20:
	s_mov_b64 s[2:3], 0
	v_mov_b32_e32 v3, s15
	s_movk_i32 s15, 0x89
	s_branch .LBB10_22
.LBB10_21:                              ;   in Loop: Header=BB10_22 Depth=1
	s_or_b64 exec, exec, s[4:5]
	v_add_u32_e32 v1, 0x200, v1
	v_cmp_le_i32_e32 vcc, s16, v1
	s_or_b64 s[2:3], vcc, s[2:3]
	s_andn2_b64 exec, exec, s[2:3]
	s_cbranch_execz .LBB10_30
.LBB10_22:                              ; =>This Loop Header: Depth=1
                                        ;     Child Loop BB10_25 Depth 2
	v_ashrrev_i32_e32 v2, 31, v1
	v_lshlrev_b64 v[7:8], 2, v[1:2]
	s_mov_b64 s[4:5], 0
	v_add_co_u32_e32 v7, vcc, s14, v7
	v_addc_co_u32_e32 v8, vcc, v3, v8, vcc
	global_load_dword v2, v[7:8], off
                                        ; implicit-def: $sgpr6_sgpr7
	s_waitcnt vmcnt(0)
	v_subrev_u32_e32 v2, s43, v2
	v_mul_lo_u32 v7, v2, s15
	v_and_b32_e32 v7, 0x3ff, v7
	s_branch .LBB10_25
.LBB10_23:                              ;   in Loop: Header=BB10_25 Depth=2
	s_or_b64 exec, exec, s[10:11]
	s_andn2_b64 s[6:7], s[6:7], exec
	s_and_b64 s[10:11], s[12:13], exec
	s_or_b64 s[6:7], s[6:7], s[10:11]
.LBB10_24:                              ;   in Loop: Header=BB10_25 Depth=2
	s_or_b64 exec, exec, s[8:9]
	s_xor_b64 s[8:9], s[6:7], -1
	s_and_b64 s[8:9], exec, s[8:9]
	s_or_b64 s[4:5], s[8:9], s[4:5]
	s_andn2_b64 exec, exec, s[4:5]
	s_cbranch_execz .LBB10_21
.LBB10_25:                              ;   Parent Loop BB10_22 Depth=1
                                        ; =>  This Inner Loop Header: Depth=2
	v_lshl_add_u32 v8, v7, 2, 0
	ds_read_b32 v9, v8
	s_andn2_b64 s[6:7], s[6:7], exec
	s_waitcnt lgkmcnt(0)
	v_cmp_ne_u32_e32 vcc, v9, v2
	s_and_saveexec_b64 s[8:9], vcc
	s_cbranch_execz .LBB10_24
; %bb.26:                               ;   in Loop: Header=BB10_25 Depth=2
	v_cmp_ne_u32_e32 vcc, s33, v9
	s_and_saveexec_b64 s[10:11], vcc
	s_xor_b64 s[10:11], exec, s[10:11]
; %bb.27:                               ;   in Loop: Header=BB10_25 Depth=2
	v_add_u32_e32 v7, 1, v7
	v_and_b32_e32 v7, 0x3ff, v7
                                        ; implicit-def: $vgpr8
; %bb.28:                               ;   in Loop: Header=BB10_25 Depth=2
	s_or_saveexec_b64 s[10:11], s[10:11]
	s_mov_b64 s[12:13], -1
	s_xor_b64 exec, exec, s[10:11]
	s_cbranch_execz .LBB10_23
; %bb.29:                               ;   in Loop: Header=BB10_25 Depth=2
	v_mov_b32_e32 v9, s33
	ds_cmpst_rtn_b32 v8, v8, v9, v2
	s_waitcnt lgkmcnt(0)
	v_cmp_ne_u32_e32 vcc, s33, v8
	s_orn2_b64 s[12:13], vcc, exec
	s_branch .LBB10_23
.LBB10_30:
	s_or_b64 exec, exec, s[0:1]
.LBB10_31:
	v_mbcnt_lo_u32_b32 v1, -1, 0
	v_mbcnt_hi_u32_b32 v1, -1, v1
	v_sub_u32_e32 v1, 63, v1
	v_lshrrev_b64 v[1:2], v1, -1
	s_movk_i32 s0, 0x1ff
	s_movk_i32 s6, 0x5f
	;; [unrolled: 1-line block ×14, first 2 shown]
	v_mov_b32_e32 v3, 0
	v_lshl_add_u32 v6, v6, 2, 0
	v_cmp_eq_u32_e64 s[0:1], s0, v0
	v_cmp_lt_u32_e64 s[2:3], 31, v0
	v_cmp_lt_u32_e64 s[4:5], 63, v0
	;; [unrolled: 1-line block ×15, first 2 shown]
	s_mov_b64 s[40:41], 0
	v_mov_b32_e32 v7, 0
	s_waitcnt lgkmcnt(0)
	s_barrier
	s_branch .LBB10_33
.LBB10_32:                              ;   in Loop: Header=BB10_33 Depth=1
	s_or_b64 exec, exec, s[44:45]
	s_waitcnt lgkmcnt(0)
	s_barrier
	ds_read_b32 v8, v3 offset:4156
	v_add_co_u32_e32 v4, vcc, 0x200, v4
	s_xor_b64 s[44:45], vcc, -1
	s_and_b64 s[44:45], exec, s[44:45]
	s_waitcnt lgkmcnt(0)
	v_add_u32_e32 v7, v8, v7
	s_or_b64 s[40:41], s[44:45], s[40:41]
	v_add_u32_e32 v5, 0x800, v5
	s_andn2_b64 exec, exec, s[40:41]
	s_cbranch_execz .LBB10_67
.LBB10_33:                              ; =>This Inner Loop Header: Depth=1
	ds_read_b32 v8, v5
	s_waitcnt lgkmcnt(0)
	s_barrier
	v_cmp_gt_i32_e32 vcc, s33, v8
	v_and_b32_e32 v10, vcc_lo, v1
	s_bcnt1_i32_b64 s35, vcc
	v_and_b32_e32 v9, vcc_hi, v2
	v_bcnt_u32_b32 v10, v10, 0
	v_bcnt_u32_b32 v9, v9, v10
	v_mov_b32_e32 v10, s35
	ds_write_b32 v6, v10 offset:4096
	s_waitcnt lgkmcnt(0)
	s_barrier
	s_and_saveexec_b64 s[44:45], s[2:3]
	s_cbranch_execnz .LBB10_50
; %bb.34:                               ;   in Loop: Header=BB10_33 Depth=1
	s_or_b64 exec, exec, s[44:45]
	s_and_saveexec_b64 s[44:45], s[4:5]
	s_cbranch_execnz .LBB10_51
.LBB10_35:                              ;   in Loop: Header=BB10_33 Depth=1
	s_or_b64 exec, exec, s[44:45]
	s_and_saveexec_b64 s[44:45], s[6:7]
	s_cbranch_execnz .LBB10_52
.LBB10_36:                              ;   in Loop: Header=BB10_33 Depth=1
	s_or_b64 exec, exec, s[44:45]
	s_and_saveexec_b64 s[44:45], s[8:9]
	s_cbranch_execnz .LBB10_53
.LBB10_37:                              ;   in Loop: Header=BB10_33 Depth=1
	s_or_b64 exec, exec, s[44:45]
	s_and_saveexec_b64 s[44:45], s[10:11]
	s_cbranch_execnz .LBB10_54
.LBB10_38:                              ;   in Loop: Header=BB10_33 Depth=1
	s_or_b64 exec, exec, s[44:45]
	s_and_saveexec_b64 s[44:45], s[12:13]
	s_cbranch_execnz .LBB10_55
.LBB10_39:                              ;   in Loop: Header=BB10_33 Depth=1
	s_or_b64 exec, exec, s[44:45]
	s_and_saveexec_b64 s[44:45], s[14:15]
	s_cbranch_execnz .LBB10_56
.LBB10_40:                              ;   in Loop: Header=BB10_33 Depth=1
	s_or_b64 exec, exec, s[44:45]
	s_and_saveexec_b64 s[44:45], s[16:17]
	s_cbranch_execnz .LBB10_57
.LBB10_41:                              ;   in Loop: Header=BB10_33 Depth=1
	s_or_b64 exec, exec, s[44:45]
	s_and_saveexec_b64 s[44:45], s[18:19]
	s_cbranch_execnz .LBB10_58
.LBB10_42:                              ;   in Loop: Header=BB10_33 Depth=1
	s_or_b64 exec, exec, s[44:45]
	s_and_saveexec_b64 s[44:45], s[20:21]
	s_cbranch_execnz .LBB10_59
.LBB10_43:                              ;   in Loop: Header=BB10_33 Depth=1
	s_or_b64 exec, exec, s[44:45]
	s_and_saveexec_b64 s[44:45], s[22:23]
	s_cbranch_execnz .LBB10_60
.LBB10_44:                              ;   in Loop: Header=BB10_33 Depth=1
	s_or_b64 exec, exec, s[44:45]
	s_and_saveexec_b64 s[44:45], s[24:25]
	s_cbranch_execnz .LBB10_61
.LBB10_45:                              ;   in Loop: Header=BB10_33 Depth=1
	s_or_b64 exec, exec, s[44:45]
	s_and_saveexec_b64 s[44:45], s[26:27]
	s_cbranch_execnz .LBB10_62
.LBB10_46:                              ;   in Loop: Header=BB10_33 Depth=1
	s_or_b64 exec, exec, s[44:45]
	s_and_saveexec_b64 s[44:45], s[28:29]
	s_cbranch_execnz .LBB10_63
.LBB10_47:                              ;   in Loop: Header=BB10_33 Depth=1
	s_or_b64 exec, exec, s[44:45]
	s_and_saveexec_b64 s[44:45], s[30:31]
	s_cbranch_execnz .LBB10_64
.LBB10_48:                              ;   in Loop: Header=BB10_33 Depth=1
	s_or_b64 exec, exec, s[44:45]
	s_and_saveexec_b64 s[44:45], vcc
	s_cbranch_execnz .LBB10_65
.LBB10_49:                              ;   in Loop: Header=BB10_33 Depth=1
	s_or_b64 exec, exec, s[44:45]
	s_and_saveexec_b64 s[44:45], s[0:1]
	s_cbranch_execz .LBB10_32
	s_branch .LBB10_66
.LBB10_50:                              ;   in Loop: Header=BB10_33 Depth=1
	ds_read_b32 v10, v3 offset:4096
	s_waitcnt lgkmcnt(0)
	v_add_u32_e32 v9, v10, v9
	s_or_b64 exec, exec, s[44:45]
	s_and_saveexec_b64 s[44:45], s[4:5]
	s_cbranch_execz .LBB10_35
.LBB10_51:                              ;   in Loop: Header=BB10_33 Depth=1
	ds_read_b32 v10, v3 offset:4100
	s_waitcnt lgkmcnt(0)
	v_add_u32_e32 v9, v10, v9
	s_or_b64 exec, exec, s[44:45]
	s_and_saveexec_b64 s[44:45], s[6:7]
	s_cbranch_execz .LBB10_36
.LBB10_52:                              ;   in Loop: Header=BB10_33 Depth=1
	ds_read_b32 v10, v3 offset:4104
	s_waitcnt lgkmcnt(0)
	v_add_u32_e32 v9, v10, v9
	s_or_b64 exec, exec, s[44:45]
	s_and_saveexec_b64 s[44:45], s[8:9]
	s_cbranch_execz .LBB10_37
.LBB10_53:                              ;   in Loop: Header=BB10_33 Depth=1
	ds_read_b32 v10, v3 offset:4108
	s_waitcnt lgkmcnt(0)
	v_add_u32_e32 v9, v10, v9
	s_or_b64 exec, exec, s[44:45]
	s_and_saveexec_b64 s[44:45], s[10:11]
	s_cbranch_execz .LBB10_38
.LBB10_54:                              ;   in Loop: Header=BB10_33 Depth=1
	ds_read_b32 v10, v3 offset:4112
	s_waitcnt lgkmcnt(0)
	v_add_u32_e32 v9, v10, v9
	s_or_b64 exec, exec, s[44:45]
	s_and_saveexec_b64 s[44:45], s[12:13]
	s_cbranch_execz .LBB10_39
.LBB10_55:                              ;   in Loop: Header=BB10_33 Depth=1
	ds_read_b32 v10, v3 offset:4116
	s_waitcnt lgkmcnt(0)
	v_add_u32_e32 v9, v10, v9
	s_or_b64 exec, exec, s[44:45]
	s_and_saveexec_b64 s[44:45], s[14:15]
	s_cbranch_execz .LBB10_40
.LBB10_56:                              ;   in Loop: Header=BB10_33 Depth=1
	ds_read_b32 v10, v3 offset:4120
	s_waitcnt lgkmcnt(0)
	v_add_u32_e32 v9, v10, v9
	s_or_b64 exec, exec, s[44:45]
	s_and_saveexec_b64 s[44:45], s[16:17]
	s_cbranch_execz .LBB10_41
.LBB10_57:                              ;   in Loop: Header=BB10_33 Depth=1
	ds_read_b32 v10, v3 offset:4124
	s_waitcnt lgkmcnt(0)
	v_add_u32_e32 v9, v10, v9
	s_or_b64 exec, exec, s[44:45]
	s_and_saveexec_b64 s[44:45], s[18:19]
	s_cbranch_execz .LBB10_42
.LBB10_58:                              ;   in Loop: Header=BB10_33 Depth=1
	ds_read_b32 v10, v3 offset:4128
	s_waitcnt lgkmcnt(0)
	v_add_u32_e32 v9, v10, v9
	s_or_b64 exec, exec, s[44:45]
	s_and_saveexec_b64 s[44:45], s[20:21]
	s_cbranch_execz .LBB10_43
.LBB10_59:                              ;   in Loop: Header=BB10_33 Depth=1
	ds_read_b32 v10, v3 offset:4132
	s_waitcnt lgkmcnt(0)
	v_add_u32_e32 v9, v10, v9
	s_or_b64 exec, exec, s[44:45]
	s_and_saveexec_b64 s[44:45], s[22:23]
	s_cbranch_execz .LBB10_44
.LBB10_60:                              ;   in Loop: Header=BB10_33 Depth=1
	ds_read_b32 v10, v3 offset:4136
	s_waitcnt lgkmcnt(0)
	v_add_u32_e32 v9, v10, v9
	s_or_b64 exec, exec, s[44:45]
	s_and_saveexec_b64 s[44:45], s[24:25]
	s_cbranch_execz .LBB10_45
.LBB10_61:                              ;   in Loop: Header=BB10_33 Depth=1
	ds_read_b32 v10, v3 offset:4140
	s_waitcnt lgkmcnt(0)
	v_add_u32_e32 v9, v10, v9
	s_or_b64 exec, exec, s[44:45]
	s_and_saveexec_b64 s[44:45], s[26:27]
	s_cbranch_execz .LBB10_46
.LBB10_62:                              ;   in Loop: Header=BB10_33 Depth=1
	ds_read_b32 v10, v3 offset:4144
	s_waitcnt lgkmcnt(0)
	v_add_u32_e32 v9, v10, v9
	s_or_b64 exec, exec, s[44:45]
	s_and_saveexec_b64 s[44:45], s[28:29]
	s_cbranch_execz .LBB10_47
.LBB10_63:                              ;   in Loop: Header=BB10_33 Depth=1
	ds_read_b32 v10, v3 offset:4148
	s_waitcnt lgkmcnt(0)
	v_add_u32_e32 v9, v10, v9
	s_or_b64 exec, exec, s[44:45]
	s_and_saveexec_b64 s[44:45], s[30:31]
	s_cbranch_execz .LBB10_48
.LBB10_64:                              ;   in Loop: Header=BB10_33 Depth=1
	ds_read_b32 v10, v3 offset:4152
	s_waitcnt lgkmcnt(0)
	v_add_u32_e32 v9, v10, v9
	s_or_b64 exec, exec, s[44:45]
	s_and_saveexec_b64 s[44:45], vcc
	s_cbranch_execz .LBB10_49
.LBB10_65:                              ;   in Loop: Header=BB10_33 Depth=1
	v_lshlrev_b32_e32 v10, 2, v7
	v_add_u32_e32 v10, 0, v10
	v_lshlrev_b32_e32 v11, 2, v9
	v_add3_u32 v10, v10, v11, -4
	ds_write_b32 v10, v8
	s_or_b64 exec, exec, s[44:45]
	s_and_saveexec_b64 s[44:45], s[0:1]
	s_cbranch_execz .LBB10_32
.LBB10_66:                              ;   in Loop: Header=BB10_33 Depth=1
	ds_write_b32 v3, v9 offset:4156
	s_branch .LBB10_32
.LBB10_67:
	s_or_b64 exec, exec, s[40:41]
	s_ashr_i32 s35, s34, 31
	s_lshl_b64 s[0:1], s[34:35], 2
	s_add_u32 s2, s36, s0
	s_addc_u32 s3, s37, s1
	s_load_dwordx2 s[0:1], s[2:3], 0x0
	s_waitcnt lgkmcnt(0)
	s_sub_i32 s6, s1, s0
	v_cmp_gt_i32_e32 vcc, s6, v0
	s_and_saveexec_b64 s[2:3], vcc
	s_cbranch_execz .LBB10_77
; %bb.68:
	s_sub_i32 s7, s0, s42
	s_and_b32 s8, s6, 7
	s_sub_i32 s0, s0, s1
	s_cmp_lt_u32 s0, -7
	s_cselect_b64 s[0:1], -1, 0
	s_and_b32 s9, s6, -8
	s_cmp_lg_u32 s8, 0
	v_cndmask_b32_e64 v1, 0, 1, s[0:1]
	s_cselect_b64 s[2:3], -1, 0
	v_cmp_ne_u32_e64 s[0:1], 1, v1
	v_cndmask_b32_e64 v1, 0, 1, s[2:3]
	s_mov_b64 s[4:5], 0
	v_cmp_ne_u32_e64 s[2:3], 1, v1
	v_mov_b32_e32 v3, s39
	s_branch .LBB10_70
.LBB10_69:                              ;   in Loop: Header=BB10_70 Depth=1
	s_waitcnt lgkmcnt(0)
	v_add_u32_e32 v4, s42, v2
	v_ashrrev_i32_e32 v2, 31, v1
	v_lshlrev_b64 v[1:2], 2, v[1:2]
	v_add_u32_e32 v0, 0x200, v0
	v_add_co_u32_e32 v1, vcc, s38, v1
	v_addc_co_u32_e32 v2, vcc, v3, v2, vcc
	v_cmp_le_i32_e32 vcc, s6, v0
	s_or_b64 s[4:5], vcc, s[4:5]
	global_store_dword v[1:2], v4, off
	s_andn2_b64 exec, exec, s[4:5]
	s_cbranch_execz .LBB10_77
.LBB10_70:                              ; =>This Loop Header: Depth=1
                                        ;     Child Loop BB10_72 Depth 2
                                        ;     Child Loop BB10_76 Depth 2
	v_lshl_add_u32 v1, v0, 2, 0
	ds_read_b32 v2, v1
	s_and_b64 vcc, exec, s[0:1]
	v_mov_b32_e32 v1, s7
	s_mov_b32 s10, 0
	s_cbranch_vccnz .LBB10_74
; %bb.71:                               ;   in Loop: Header=BB10_70 Depth=1
	s_mov_b32 s11, 0
	v_mov_b32_e32 v1, s7
.LBB10_72:                              ;   Parent Loop BB10_70 Depth=1
                                        ; =>  This Inner Loop Header: Depth=2
	v_mov_b32_e32 v10, s11
	ds_read2_b32 v[4:5], v10 offset1:1
	ds_read2_b32 v[6:7], v10 offset0:2 offset1:3
	ds_read2_b32 v[8:9], v10 offset0:4 offset1:5
	;; [unrolled: 1-line block ×3, first 2 shown]
	s_add_i32 s10, s10, 8
	s_waitcnt lgkmcnt(3)
	v_cmp_gt_i32_e32 vcc, v2, v4
	v_cndmask_b32_e64 v4, 0, 1, vcc
	s_waitcnt lgkmcnt(2)
	v_cmp_gt_i32_e32 vcc, v2, v6
	v_cndmask_b32_e64 v6, 0, 1, vcc
	;; [unrolled: 3-line block ×4, first 2 shown]
	v_cmp_gt_i32_e32 vcc, v2, v5
	v_addc_co_u32_e32 v1, vcc, v1, v4, vcc
	v_cmp_gt_i32_e32 vcc, v2, v7
	v_addc_co_u32_e32 v1, vcc, v1, v6, vcc
	;; [unrolled: 2-line block ×3, first 2 shown]
	s_add_i32 s11, s11, 32
	v_cmp_gt_i32_e32 vcc, v2, v11
	s_cmp_eq_u32 s9, s10
	v_addc_co_u32_e32 v1, vcc, v1, v10, vcc
	s_cbranch_scc0 .LBB10_72
; %bb.73:                               ;   in Loop: Header=BB10_70 Depth=1
	s_mov_b32 s10, s9
.LBB10_74:                              ;   in Loop: Header=BB10_70 Depth=1
	s_and_b64 vcc, exec, s[2:3]
	s_cbranch_vccnz .LBB10_69
; %bb.75:                               ;   in Loop: Header=BB10_70 Depth=1
	s_lshl_b32 s10, s10, 2
	s_add_i32 s10, s10, 0
	s_mov_b32 s11, s8
.LBB10_76:                              ;   Parent Loop BB10_70 Depth=1
                                        ; =>  This Inner Loop Header: Depth=2
	v_mov_b32_e32 v4, s10
	ds_read_b32 v4, v4
	s_add_i32 s10, s10, 4
	s_add_i32 s11, s11, -1
	s_cmp_lg_u32 s11, 0
	s_waitcnt lgkmcnt(0)
	v_cmp_gt_i32_e32 vcc, v2, v4
	v_addc_co_u32_e32 v1, vcc, 0, v1, vcc
	s_cbranch_scc1 .LBB10_76
	s_branch .LBB10_69
.LBB10_77:
	s_endpgm
	.section	.rodata,"a",@progbits
	.p2align	6, 0x0
	.amdhsa_kernel _ZN9rocsparseL35csrgemm_symbolic_fill_block_per_rowILj512ELj32ELj1024ELj137ELj32EiiEEvT5_PKS1_S3_PKT4_S3_S6_S3_S6_S3_S6_PS1_21rocsparse_index_base_S8_S8_S8_bb
		.amdhsa_group_segment_fixed_size 0
		.amdhsa_private_segment_fixed_size 0
		.amdhsa_kernarg_size 108
		.amdhsa_user_sgpr_count 6
		.amdhsa_user_sgpr_private_segment_buffer 1
		.amdhsa_user_sgpr_dispatch_ptr 0
		.amdhsa_user_sgpr_queue_ptr 0
		.amdhsa_user_sgpr_kernarg_segment_ptr 1
		.amdhsa_user_sgpr_dispatch_id 0
		.amdhsa_user_sgpr_flat_scratch_init 0
		.amdhsa_user_sgpr_private_segment_size 0
		.amdhsa_uses_dynamic_stack 0
		.amdhsa_system_sgpr_private_segment_wavefront_offset 0
		.amdhsa_system_sgpr_workgroup_id_x 1
		.amdhsa_system_sgpr_workgroup_id_y 0
		.amdhsa_system_sgpr_workgroup_id_z 0
		.amdhsa_system_sgpr_workgroup_info 0
		.amdhsa_system_vgpr_workitem_id 0
		.amdhsa_next_free_vgpr 14
		.amdhsa_next_free_sgpr 46
		.amdhsa_reserve_vcc 1
		.amdhsa_reserve_flat_scratch 0
		.amdhsa_float_round_mode_32 0
		.amdhsa_float_round_mode_16_64 0
		.amdhsa_float_denorm_mode_32 3
		.amdhsa_float_denorm_mode_16_64 3
		.amdhsa_dx10_clamp 1
		.amdhsa_ieee_mode 1
		.amdhsa_fp16_overflow 0
		.amdhsa_exception_fp_ieee_invalid_op 0
		.amdhsa_exception_fp_denorm_src 0
		.amdhsa_exception_fp_ieee_div_zero 0
		.amdhsa_exception_fp_ieee_overflow 0
		.amdhsa_exception_fp_ieee_underflow 0
		.amdhsa_exception_fp_ieee_inexact 0
		.amdhsa_exception_int_div_zero 0
	.end_amdhsa_kernel
	.section	.text._ZN9rocsparseL35csrgemm_symbolic_fill_block_per_rowILj512ELj32ELj1024ELj137ELj32EiiEEvT5_PKS1_S3_PKT4_S3_S6_S3_S6_S3_S6_PS1_21rocsparse_index_base_S8_S8_S8_bb,"axG",@progbits,_ZN9rocsparseL35csrgemm_symbolic_fill_block_per_rowILj512ELj32ELj1024ELj137ELj32EiiEEvT5_PKS1_S3_PKT4_S3_S6_S3_S6_S3_S6_PS1_21rocsparse_index_base_S8_S8_S8_bb,comdat
.Lfunc_end10:
	.size	_ZN9rocsparseL35csrgemm_symbolic_fill_block_per_rowILj512ELj32ELj1024ELj137ELj32EiiEEvT5_PKS1_S3_PKT4_S3_S6_S3_S6_S3_S6_PS1_21rocsparse_index_base_S8_S8_S8_bb, .Lfunc_end10-_ZN9rocsparseL35csrgemm_symbolic_fill_block_per_rowILj512ELj32ELj1024ELj137ELj32EiiEEvT5_PKS1_S3_PKT4_S3_S6_S3_S6_S3_S6_PS1_21rocsparse_index_base_S8_S8_S8_bb
                                        ; -- End function
	.set _ZN9rocsparseL35csrgemm_symbolic_fill_block_per_rowILj512ELj32ELj1024ELj137ELj32EiiEEvT5_PKS1_S3_PKT4_S3_S6_S3_S6_S3_S6_PS1_21rocsparse_index_base_S8_S8_S8_bb.num_vgpr, 14
	.set _ZN9rocsparseL35csrgemm_symbolic_fill_block_per_rowILj512ELj32ELj1024ELj137ELj32EiiEEvT5_PKS1_S3_PKT4_S3_S6_S3_S6_S3_S6_PS1_21rocsparse_index_base_S8_S8_S8_bb.num_agpr, 0
	.set _ZN9rocsparseL35csrgemm_symbolic_fill_block_per_rowILj512ELj32ELj1024ELj137ELj32EiiEEvT5_PKS1_S3_PKT4_S3_S6_S3_S6_S3_S6_PS1_21rocsparse_index_base_S8_S8_S8_bb.numbered_sgpr, 46
	.set _ZN9rocsparseL35csrgemm_symbolic_fill_block_per_rowILj512ELj32ELj1024ELj137ELj32EiiEEvT5_PKS1_S3_PKT4_S3_S6_S3_S6_S3_S6_PS1_21rocsparse_index_base_S8_S8_S8_bb.num_named_barrier, 0
	.set _ZN9rocsparseL35csrgemm_symbolic_fill_block_per_rowILj512ELj32ELj1024ELj137ELj32EiiEEvT5_PKS1_S3_PKT4_S3_S6_S3_S6_S3_S6_PS1_21rocsparse_index_base_S8_S8_S8_bb.private_seg_size, 0
	.set _ZN9rocsparseL35csrgemm_symbolic_fill_block_per_rowILj512ELj32ELj1024ELj137ELj32EiiEEvT5_PKS1_S3_PKT4_S3_S6_S3_S6_S3_S6_PS1_21rocsparse_index_base_S8_S8_S8_bb.uses_vcc, 1
	.set _ZN9rocsparseL35csrgemm_symbolic_fill_block_per_rowILj512ELj32ELj1024ELj137ELj32EiiEEvT5_PKS1_S3_PKT4_S3_S6_S3_S6_S3_S6_PS1_21rocsparse_index_base_S8_S8_S8_bb.uses_flat_scratch, 0
	.set _ZN9rocsparseL35csrgemm_symbolic_fill_block_per_rowILj512ELj32ELj1024ELj137ELj32EiiEEvT5_PKS1_S3_PKT4_S3_S6_S3_S6_S3_S6_PS1_21rocsparse_index_base_S8_S8_S8_bb.has_dyn_sized_stack, 0
	.set _ZN9rocsparseL35csrgemm_symbolic_fill_block_per_rowILj512ELj32ELj1024ELj137ELj32EiiEEvT5_PKS1_S3_PKT4_S3_S6_S3_S6_S3_S6_PS1_21rocsparse_index_base_S8_S8_S8_bb.has_recursion, 0
	.set _ZN9rocsparseL35csrgemm_symbolic_fill_block_per_rowILj512ELj32ELj1024ELj137ELj32EiiEEvT5_PKS1_S3_PKT4_S3_S6_S3_S6_S3_S6_PS1_21rocsparse_index_base_S8_S8_S8_bb.has_indirect_call, 0
	.section	.AMDGPU.csdata,"",@progbits
; Kernel info:
; codeLenInByte = 2460
; TotalNumSgprs: 50
; NumVgprs: 14
; ScratchSize: 0
; MemoryBound: 0
; FloatMode: 240
; IeeeMode: 1
; LDSByteSize: 0 bytes/workgroup (compile time only)
; SGPRBlocks: 6
; VGPRBlocks: 3
; NumSGPRsForWavesPerEU: 50
; NumVGPRsForWavesPerEU: 14
; Occupancy: 10
; WaveLimiterHint : 1
; COMPUTE_PGM_RSRC2:SCRATCH_EN: 0
; COMPUTE_PGM_RSRC2:USER_SGPR: 6
; COMPUTE_PGM_RSRC2:TRAP_HANDLER: 0
; COMPUTE_PGM_RSRC2:TGID_X_EN: 1
; COMPUTE_PGM_RSRC2:TGID_Y_EN: 0
; COMPUTE_PGM_RSRC2:TGID_Z_EN: 0
; COMPUTE_PGM_RSRC2:TIDIG_COMP_CNT: 0
	.section	.text._ZN9rocsparseL35csrgemm_symbolic_fill_block_per_rowILj512ELj32ELj1024ELj137ELj64EiiEEvT5_PKS1_S3_PKT4_S3_S6_S3_S6_S3_S6_PS1_21rocsparse_index_base_S8_S8_S8_bb,"axG",@progbits,_ZN9rocsparseL35csrgemm_symbolic_fill_block_per_rowILj512ELj32ELj1024ELj137ELj64EiiEEvT5_PKS1_S3_PKT4_S3_S6_S3_S6_S3_S6_PS1_21rocsparse_index_base_S8_S8_S8_bb,comdat
	.globl	_ZN9rocsparseL35csrgemm_symbolic_fill_block_per_rowILj512ELj32ELj1024ELj137ELj64EiiEEvT5_PKS1_S3_PKT4_S3_S6_S3_S6_S3_S6_PS1_21rocsparse_index_base_S8_S8_S8_bb ; -- Begin function _ZN9rocsparseL35csrgemm_symbolic_fill_block_per_rowILj512ELj32ELj1024ELj137ELj64EiiEEvT5_PKS1_S3_PKT4_S3_S6_S3_S6_S3_S6_PS1_21rocsparse_index_base_S8_S8_S8_bb
	.p2align	8
	.type	_ZN9rocsparseL35csrgemm_symbolic_fill_block_per_rowILj512ELj32ELj1024ELj137ELj64EiiEEvT5_PKS1_S3_PKT4_S3_S6_S3_S6_S3_S6_PS1_21rocsparse_index_base_S8_S8_S8_bb,@function
_ZN9rocsparseL35csrgemm_symbolic_fill_block_per_rowILj512ELj32ELj1024ELj137ELj64EiiEEvT5_PKS1_S3_PKT4_S3_S6_S3_S6_S3_S6_PS1_21rocsparse_index_base_S8_S8_S8_bb: ; @_ZN9rocsparseL35csrgemm_symbolic_fill_block_per_rowILj512ELj32ELj1024ELj137ELj64EiiEEvT5_PKS1_S3_PKT4_S3_S6_S3_S6_S3_S6_PS1_21rocsparse_index_base_S8_S8_S8_bb
; %bb.0:
	s_load_dwordx4 s[24:27], s[4:5], 0x48
	s_load_dwordx8 s[8:15], s[4:5], 0x28
	s_load_dword s33, s[4:5], 0x0
	s_load_dwordx8 s[16:23], s[4:5], 0x8
	v_or_b32_e32 v4, 0xfffffe00, v0
	v_lshl_add_u32 v5, v0, 2, 0
	s_mov_b64 s[0:1], 0
	s_waitcnt lgkmcnt(0)
	v_mov_b32_e32 v1, s33
	v_mov_b32_e32 v2, v5
	;; [unrolled: 1-line block ×3, first 2 shown]
.LBB11_1:                               ; =>This Inner Loop Header: Depth=1
	v_add_co_u32_e32 v3, vcc, 0x200, v3
	s_xor_b64 s[2:3], vcc, -1
	s_and_b64 s[2:3], exec, s[2:3]
	ds_write_b32 v2, v1
	s_or_b64 s[0:1], s[2:3], s[0:1]
	v_add_u32_e32 v2, 0x800, v2
	s_andn2_b64 exec, exec, s[0:1]
	s_cbranch_execnz .LBB11_1
; %bb.2:
	s_or_b64 exec, exec, s[0:1]
	s_load_dword s40, s[4:5], 0x68
	s_waitcnt lgkmcnt(0)
	s_barrier
	s_load_dword s2, s[16:17], 0x0
	s_load_dwordx4 s[28:31], s[4:5], 0x58
	s_bitcmp1_b32 s40, 0
	s_cselect_b64 s[0:1], -1, 0
	s_mov_b32 s3, 0
	s_waitcnt lgkmcnt(0)
	s_add_i32 s2, s2, s6
	s_lshl_b64 s[2:3], s[2:3], 2
	s_add_u32 s2, s18, s2
	s_addc_u32 s3, s19, s3
	s_load_dword s16, s[2:3], 0x0
	s_and_b64 vcc, exec, s[0:1]
	s_cbranch_vccz .LBB11_18
; %bb.3:
	s_waitcnt lgkmcnt(0)
	s_ashr_i32 s17, s16, 31
	s_lshl_b64 s[0:1], s[16:17], 2
	s_add_u32 s0, s20, s0
	s_addc_u32 s1, s21, s1
	s_load_dwordx2 s[2:3], s[0:1], 0x0
	v_lshrrev_b32_e32 v1, 5, v0
	v_subrev_u32_e32 v1, s28, v1
	s_waitcnt lgkmcnt(0)
	s_sub_i32 s17, s3, s28
	v_add_u32_e32 v1, s2, v1
	v_cmp_gt_i32_e32 vcc, s17, v1
	s_and_saveexec_b64 s[0:1], vcc
	s_cbranch_execz .LBB11_17
; %bb.4:
	v_and_b32_e32 v2, 31, v0
	v_subrev_u32_e32 v6, s29, v2
	s_mov_b64 s[2:3], 0
	v_mov_b32_e32 v7, s23
	v_mov_b32_e32 v8, s9
	s_movk_i32 s9, 0x89
	s_branch .LBB11_6
.LBB11_5:                               ;   in Loop: Header=BB11_6 Depth=1
	s_or_b64 exec, exec, s[4:5]
	v_add_u32_e32 v1, 16, v1
	v_cmp_le_i32_e32 vcc, s17, v1
	s_or_b64 s[2:3], vcc, s[2:3]
	s_andn2_b64 exec, exec, s[2:3]
	s_cbranch_execz .LBB11_17
.LBB11_6:                               ; =>This Loop Header: Depth=1
                                        ;     Child Loop BB11_9 Depth 2
                                        ;       Child Loop BB11_12 Depth 3
	v_ashrrev_i32_e32 v2, 31, v1
	v_lshlrev_b64 v[2:3], 2, v[1:2]
	v_add_co_u32_e32 v2, vcc, s22, v2
	v_addc_co_u32_e32 v3, vcc, v7, v3, vcc
	global_load_dword v2, v[2:3], off
	s_waitcnt vmcnt(0)
	v_subrev_u32_e32 v2, s28, v2
	v_ashrrev_i32_e32 v3, 31, v2
	v_lshlrev_b64 v[2:3], 2, v[2:3]
	v_add_co_u32_e32 v2, vcc, s8, v2
	v_addc_co_u32_e32 v3, vcc, v8, v3, vcc
	global_load_dwordx2 v[2:3], v[2:3], off
	s_waitcnt vmcnt(0)
	v_subrev_u32_e32 v9, s29, v3
	v_add_u32_e32 v2, v2, v6
	v_cmp_lt_i32_e32 vcc, v2, v9
	s_and_saveexec_b64 s[4:5], vcc
	s_cbranch_execz .LBB11_5
; %bb.7:                                ;   in Loop: Header=BB11_6 Depth=1
	s_mov_b64 s[6:7], 0
	s_branch .LBB11_9
.LBB11_8:                               ;   in Loop: Header=BB11_9 Depth=2
	s_or_b64 exec, exec, s[18:19]
	v_add_u32_e32 v2, 32, v2
	v_cmp_ge_i32_e32 vcc, v2, v9
	s_or_b64 s[6:7], vcc, s[6:7]
	s_andn2_b64 exec, exec, s[6:7]
	s_cbranch_execz .LBB11_5
.LBB11_9:                               ;   Parent Loop BB11_6 Depth=1
                                        ; =>  This Loop Header: Depth=2
                                        ;       Child Loop BB11_12 Depth 3
	v_ashrrev_i32_e32 v3, 31, v2
	v_lshlrev_b64 v[10:11], 2, v[2:3]
	v_mov_b32_e32 v3, s11
	v_add_co_u32_e32 v10, vcc, s10, v10
	v_addc_co_u32_e32 v11, vcc, v3, v11, vcc
	global_load_dword v3, v[10:11], off
	s_mov_b64 s[18:19], 0
                                        ; implicit-def: $sgpr20_sgpr21
	s_waitcnt vmcnt(0)
	v_subrev_u32_e32 v3, s29, v3
	v_mul_lo_u32 v10, v3, s9
	v_and_b32_e32 v10, 0x3ff, v10
	s_branch .LBB11_12
.LBB11_10:                              ;   in Loop: Header=BB11_12 Depth=3
	s_or_b64 exec, exec, s[36:37]
	s_andn2_b64 s[20:21], s[20:21], exec
	s_and_b64 s[36:37], s[38:39], exec
	s_or_b64 s[20:21], s[20:21], s[36:37]
.LBB11_11:                              ;   in Loop: Header=BB11_12 Depth=3
	s_or_b64 exec, exec, s[34:35]
	s_xor_b64 s[34:35], s[20:21], -1
	s_and_b64 s[34:35], exec, s[34:35]
	s_or_b64 s[18:19], s[34:35], s[18:19]
	s_andn2_b64 exec, exec, s[18:19]
	s_cbranch_execz .LBB11_8
.LBB11_12:                              ;   Parent Loop BB11_6 Depth=1
                                        ;     Parent Loop BB11_9 Depth=2
                                        ; =>    This Inner Loop Header: Depth=3
	v_lshl_add_u32 v11, v10, 2, 0
	ds_read_b32 v12, v11
	s_andn2_b64 s[20:21], s[20:21], exec
	s_waitcnt lgkmcnt(0)
	v_cmp_ne_u32_e32 vcc, v12, v3
	s_and_saveexec_b64 s[34:35], vcc
	s_cbranch_execz .LBB11_11
; %bb.13:                               ;   in Loop: Header=BB11_12 Depth=3
	v_cmp_ne_u32_e32 vcc, s33, v12
	s_and_saveexec_b64 s[36:37], vcc
	s_xor_b64 s[36:37], exec, s[36:37]
; %bb.14:                               ;   in Loop: Header=BB11_12 Depth=3
	v_add_u32_e32 v10, 1, v10
	v_and_b32_e32 v10, 0x3ff, v10
                                        ; implicit-def: $vgpr11
; %bb.15:                               ;   in Loop: Header=BB11_12 Depth=3
	s_or_saveexec_b64 s[36:37], s[36:37]
	s_mov_b64 s[38:39], -1
	s_xor_b64 exec, exec, s[36:37]
	s_cbranch_execz .LBB11_10
; %bb.16:                               ;   in Loop: Header=BB11_12 Depth=3
	v_mov_b32_e32 v12, s33
	ds_cmpst_rtn_b32 v11, v11, v12, v3
	s_waitcnt lgkmcnt(0)
	v_cmp_ne_u32_e32 vcc, s33, v11
	s_orn2_b64 s[38:39], vcc, exec
	s_branch .LBB11_10
.LBB11_17:
	s_or_b64 exec, exec, s[0:1]
.LBB11_18:
	s_bfe_u32 s0, s40, 0x10008
	s_cmp_eq_u32 s0, 0
	s_cbranch_scc1 .LBB11_31
; %bb.19:
	s_waitcnt lgkmcnt(0)
	s_ashr_i32 s17, s16, 31
	s_lshl_b64 s[0:1], s[16:17], 2
	s_add_u32 s0, s12, s0
	s_addc_u32 s1, s13, s1
	s_load_dwordx2 s[2:3], s[0:1], 0x0
	v_subrev_u32_e32 v1, s31, v0
	s_waitcnt lgkmcnt(0)
	s_sub_i32 s17, s3, s31
	v_add_u32_e32 v1, s2, v1
	v_cmp_gt_i32_e32 vcc, s17, v1
	s_and_saveexec_b64 s[0:1], vcc
	s_cbranch_execz .LBB11_30
; %bb.20:
	s_mov_b64 s[2:3], 0
	v_mov_b32_e32 v3, s15
	s_movk_i32 s15, 0x89
	s_branch .LBB11_22
.LBB11_21:                              ;   in Loop: Header=BB11_22 Depth=1
	s_or_b64 exec, exec, s[4:5]
	v_add_u32_e32 v1, 0x200, v1
	v_cmp_le_i32_e32 vcc, s17, v1
	s_or_b64 s[2:3], vcc, s[2:3]
	s_andn2_b64 exec, exec, s[2:3]
	s_cbranch_execz .LBB11_30
.LBB11_22:                              ; =>This Loop Header: Depth=1
                                        ;     Child Loop BB11_25 Depth 2
	v_ashrrev_i32_e32 v2, 31, v1
	v_lshlrev_b64 v[6:7], 2, v[1:2]
	s_mov_b64 s[4:5], 0
	v_add_co_u32_e32 v6, vcc, s14, v6
	v_addc_co_u32_e32 v7, vcc, v3, v7, vcc
	global_load_dword v2, v[6:7], off
                                        ; implicit-def: $sgpr6_sgpr7
	s_waitcnt vmcnt(0)
	v_subrev_u32_e32 v2, s31, v2
	v_mul_lo_u32 v6, v2, s15
	v_and_b32_e32 v6, 0x3ff, v6
	s_branch .LBB11_25
.LBB11_23:                              ;   in Loop: Header=BB11_25 Depth=2
	s_or_b64 exec, exec, s[10:11]
	s_andn2_b64 s[6:7], s[6:7], exec
	s_and_b64 s[10:11], s[12:13], exec
	s_or_b64 s[6:7], s[6:7], s[10:11]
.LBB11_24:                              ;   in Loop: Header=BB11_25 Depth=2
	s_or_b64 exec, exec, s[8:9]
	s_xor_b64 s[8:9], s[6:7], -1
	s_and_b64 s[8:9], exec, s[8:9]
	s_or_b64 s[4:5], s[8:9], s[4:5]
	s_andn2_b64 exec, exec, s[4:5]
	s_cbranch_execz .LBB11_21
.LBB11_25:                              ;   Parent Loop BB11_22 Depth=1
                                        ; =>  This Inner Loop Header: Depth=2
	v_lshl_add_u32 v7, v6, 2, 0
	ds_read_b32 v8, v7
	s_andn2_b64 s[6:7], s[6:7], exec
	s_waitcnt lgkmcnt(0)
	v_cmp_ne_u32_e32 vcc, v8, v2
	s_and_saveexec_b64 s[8:9], vcc
	s_cbranch_execz .LBB11_24
; %bb.26:                               ;   in Loop: Header=BB11_25 Depth=2
	v_cmp_ne_u32_e32 vcc, s33, v8
	s_and_saveexec_b64 s[10:11], vcc
	s_xor_b64 s[10:11], exec, s[10:11]
; %bb.27:                               ;   in Loop: Header=BB11_25 Depth=2
	v_add_u32_e32 v6, 1, v6
	v_and_b32_e32 v6, 0x3ff, v6
                                        ; implicit-def: $vgpr7
; %bb.28:                               ;   in Loop: Header=BB11_25 Depth=2
	s_or_saveexec_b64 s[10:11], s[10:11]
	s_mov_b64 s[12:13], -1
	s_xor_b64 exec, exec, s[10:11]
	s_cbranch_execz .LBB11_23
; %bb.29:                               ;   in Loop: Header=BB11_25 Depth=2
	v_mov_b32_e32 v8, s33
	ds_cmpst_rtn_b32 v7, v7, v8, v2
	s_waitcnt lgkmcnt(0)
	v_cmp_ne_u32_e32 vcc, s33, v7
	s_orn2_b64 s[12:13], vcc, exec
	s_branch .LBB11_23
.LBB11_30:
	s_or_b64 exec, exec, s[0:1]
.LBB11_31:
	v_mbcnt_lo_u32_b32 v1, -1, 0
	v_mbcnt_hi_u32_b32 v1, -1, v1
	v_sub_u32_e32 v1, 63, v1
	v_lshrrev_b32_e32 v6, 4, v0
	v_lshrrev_b64 v[1:2], v1, -1
	v_and_b32_e32 v6, 28, v6
	s_movk_i32 s0, 0x1ff
	s_movk_i32 s4, 0x7f
	;; [unrolled: 1-line block ×7, first 2 shown]
	v_mov_b32_e32 v3, 0
	v_add_u32_e32 v6, 0, v6
	v_cmp_eq_u32_e64 s[0:1], s0, v0
	v_cmp_lt_u32_e64 s[2:3], 63, v0
	v_cmp_lt_u32_e64 s[4:5], s4, v0
	;; [unrolled: 1-line block ×7, first 2 shown]
	s_mov_b64 s[18:19], 0
	v_mov_b32_e32 v7, 0
	s_waitcnt lgkmcnt(0)
	s_barrier
	s_branch .LBB11_33
.LBB11_32:                              ;   in Loop: Header=BB11_33 Depth=1
	s_or_b64 exec, exec, s[20:21]
	s_waitcnt lgkmcnt(0)
	s_barrier
	ds_read_b32 v8, v3 offset:4124
	v_add_co_u32_e32 v4, vcc, 0x200, v4
	s_xor_b64 s[20:21], vcc, -1
	s_and_b64 s[20:21], exec, s[20:21]
	s_waitcnt lgkmcnt(0)
	v_add_u32_e32 v7, v8, v7
	s_or_b64 s[18:19], s[20:21], s[18:19]
	v_add_u32_e32 v5, 0x800, v5
	s_andn2_b64 exec, exec, s[18:19]
	s_cbranch_execz .LBB11_51
.LBB11_33:                              ; =>This Inner Loop Header: Depth=1
	ds_read_b32 v8, v5
	s_waitcnt lgkmcnt(0)
	s_barrier
	v_cmp_gt_i32_e32 vcc, s33, v8
	v_and_b32_e32 v10, vcc_lo, v1
	s_bcnt1_i32_b64 s17, vcc
	v_and_b32_e32 v9, vcc_hi, v2
	v_bcnt_u32_b32 v10, v10, 0
	v_bcnt_u32_b32 v9, v9, v10
	v_mov_b32_e32 v10, s17
	ds_write_b32 v6, v10 offset:4096
	s_waitcnt lgkmcnt(0)
	s_barrier
	s_and_saveexec_b64 s[20:21], s[2:3]
	s_cbranch_execnz .LBB11_42
; %bb.34:                               ;   in Loop: Header=BB11_33 Depth=1
	s_or_b64 exec, exec, s[20:21]
	s_and_saveexec_b64 s[20:21], s[4:5]
	s_cbranch_execnz .LBB11_43
.LBB11_35:                              ;   in Loop: Header=BB11_33 Depth=1
	s_or_b64 exec, exec, s[20:21]
	s_and_saveexec_b64 s[20:21], s[6:7]
	s_cbranch_execnz .LBB11_44
.LBB11_36:                              ;   in Loop: Header=BB11_33 Depth=1
	s_or_b64 exec, exec, s[20:21]
	s_and_saveexec_b64 s[20:21], s[8:9]
	s_cbranch_execnz .LBB11_45
.LBB11_37:                              ;   in Loop: Header=BB11_33 Depth=1
	s_or_b64 exec, exec, s[20:21]
	s_and_saveexec_b64 s[20:21], s[10:11]
	s_cbranch_execnz .LBB11_46
.LBB11_38:                              ;   in Loop: Header=BB11_33 Depth=1
	s_or_b64 exec, exec, s[20:21]
	s_and_saveexec_b64 s[20:21], s[12:13]
	s_cbranch_execnz .LBB11_47
.LBB11_39:                              ;   in Loop: Header=BB11_33 Depth=1
	s_or_b64 exec, exec, s[20:21]
	s_and_saveexec_b64 s[20:21], s[14:15]
	s_cbranch_execnz .LBB11_48
.LBB11_40:                              ;   in Loop: Header=BB11_33 Depth=1
	s_or_b64 exec, exec, s[20:21]
	s_and_saveexec_b64 s[20:21], vcc
	s_cbranch_execnz .LBB11_49
.LBB11_41:                              ;   in Loop: Header=BB11_33 Depth=1
	s_or_b64 exec, exec, s[20:21]
	s_and_saveexec_b64 s[20:21], s[0:1]
	s_cbranch_execz .LBB11_32
	s_branch .LBB11_50
.LBB11_42:                              ;   in Loop: Header=BB11_33 Depth=1
	ds_read_b32 v10, v3 offset:4096
	s_waitcnt lgkmcnt(0)
	v_add_u32_e32 v9, v10, v9
	s_or_b64 exec, exec, s[20:21]
	s_and_saveexec_b64 s[20:21], s[4:5]
	s_cbranch_execz .LBB11_35
.LBB11_43:                              ;   in Loop: Header=BB11_33 Depth=1
	ds_read_b32 v10, v3 offset:4100
	s_waitcnt lgkmcnt(0)
	v_add_u32_e32 v9, v10, v9
	s_or_b64 exec, exec, s[20:21]
	s_and_saveexec_b64 s[20:21], s[6:7]
	s_cbranch_execz .LBB11_36
.LBB11_44:                              ;   in Loop: Header=BB11_33 Depth=1
	ds_read_b32 v10, v3 offset:4104
	s_waitcnt lgkmcnt(0)
	v_add_u32_e32 v9, v10, v9
	s_or_b64 exec, exec, s[20:21]
	s_and_saveexec_b64 s[20:21], s[8:9]
	s_cbranch_execz .LBB11_37
.LBB11_45:                              ;   in Loop: Header=BB11_33 Depth=1
	ds_read_b32 v10, v3 offset:4108
	s_waitcnt lgkmcnt(0)
	v_add_u32_e32 v9, v10, v9
	s_or_b64 exec, exec, s[20:21]
	s_and_saveexec_b64 s[20:21], s[10:11]
	s_cbranch_execz .LBB11_38
.LBB11_46:                              ;   in Loop: Header=BB11_33 Depth=1
	ds_read_b32 v10, v3 offset:4112
	s_waitcnt lgkmcnt(0)
	v_add_u32_e32 v9, v10, v9
	s_or_b64 exec, exec, s[20:21]
	s_and_saveexec_b64 s[20:21], s[12:13]
	s_cbranch_execz .LBB11_39
.LBB11_47:                              ;   in Loop: Header=BB11_33 Depth=1
	ds_read_b32 v10, v3 offset:4116
	s_waitcnt lgkmcnt(0)
	v_add_u32_e32 v9, v10, v9
	s_or_b64 exec, exec, s[20:21]
	s_and_saveexec_b64 s[20:21], s[14:15]
	s_cbranch_execz .LBB11_40
.LBB11_48:                              ;   in Loop: Header=BB11_33 Depth=1
	ds_read_b32 v10, v3 offset:4120
	s_waitcnt lgkmcnt(0)
	v_add_u32_e32 v9, v10, v9
	s_or_b64 exec, exec, s[20:21]
	s_and_saveexec_b64 s[20:21], vcc
	s_cbranch_execz .LBB11_41
.LBB11_49:                              ;   in Loop: Header=BB11_33 Depth=1
	v_lshlrev_b32_e32 v10, 2, v7
	v_add_u32_e32 v10, 0, v10
	v_lshlrev_b32_e32 v11, 2, v9
	v_add3_u32 v10, v10, v11, -4
	ds_write_b32 v10, v8
	s_or_b64 exec, exec, s[20:21]
	s_and_saveexec_b64 s[20:21], s[0:1]
	s_cbranch_execz .LBB11_32
.LBB11_50:                              ;   in Loop: Header=BB11_33 Depth=1
	ds_write_b32 v3, v9 offset:4124
	s_branch .LBB11_32
.LBB11_51:
	s_or_b64 exec, exec, s[18:19]
	s_ashr_i32 s17, s16, 31
	s_lshl_b64 s[0:1], s[16:17], 2
	s_add_u32 s2, s24, s0
	s_addc_u32 s3, s25, s1
	s_load_dwordx2 s[0:1], s[2:3], 0x0
	s_waitcnt lgkmcnt(0)
	s_sub_i32 s6, s1, s0
	v_cmp_gt_i32_e32 vcc, s6, v0
	s_and_saveexec_b64 s[2:3], vcc
	s_cbranch_execz .LBB11_61
; %bb.52:
	s_sub_i32 s7, s0, s30
	s_and_b32 s8, s6, 7
	s_sub_i32 s0, s0, s1
	s_cmp_lt_u32 s0, -7
	s_cselect_b64 s[0:1], -1, 0
	s_and_b32 s9, s6, -8
	s_cmp_lg_u32 s8, 0
	v_cndmask_b32_e64 v1, 0, 1, s[0:1]
	s_cselect_b64 s[2:3], -1, 0
	v_cmp_ne_u32_e64 s[0:1], 1, v1
	v_cndmask_b32_e64 v1, 0, 1, s[2:3]
	s_mov_b64 s[4:5], 0
	v_cmp_ne_u32_e64 s[2:3], 1, v1
	v_mov_b32_e32 v3, s27
	s_branch .LBB11_54
.LBB11_53:                              ;   in Loop: Header=BB11_54 Depth=1
	s_waitcnt lgkmcnt(0)
	v_add_u32_e32 v4, s30, v2
	v_ashrrev_i32_e32 v2, 31, v1
	v_lshlrev_b64 v[1:2], 2, v[1:2]
	v_add_u32_e32 v0, 0x200, v0
	v_add_co_u32_e32 v1, vcc, s26, v1
	v_addc_co_u32_e32 v2, vcc, v3, v2, vcc
	v_cmp_le_i32_e32 vcc, s6, v0
	s_or_b64 s[4:5], vcc, s[4:5]
	global_store_dword v[1:2], v4, off
	s_andn2_b64 exec, exec, s[4:5]
	s_cbranch_execz .LBB11_61
.LBB11_54:                              ; =>This Loop Header: Depth=1
                                        ;     Child Loop BB11_56 Depth 2
                                        ;     Child Loop BB11_60 Depth 2
	v_lshl_add_u32 v1, v0, 2, 0
	ds_read_b32 v2, v1
	s_and_b64 vcc, exec, s[0:1]
	v_mov_b32_e32 v1, s7
	s_mov_b32 s10, 0
	s_cbranch_vccnz .LBB11_58
; %bb.55:                               ;   in Loop: Header=BB11_54 Depth=1
	s_mov_b32 s11, 0
	v_mov_b32_e32 v1, s7
.LBB11_56:                              ;   Parent Loop BB11_54 Depth=1
                                        ; =>  This Inner Loop Header: Depth=2
	v_mov_b32_e32 v10, s11
	ds_read2_b32 v[4:5], v10 offset1:1
	ds_read2_b32 v[6:7], v10 offset0:2 offset1:3
	ds_read2_b32 v[8:9], v10 offset0:4 offset1:5
	;; [unrolled: 1-line block ×3, first 2 shown]
	s_add_i32 s10, s10, 8
	s_waitcnt lgkmcnt(3)
	v_cmp_gt_i32_e32 vcc, v2, v4
	v_cndmask_b32_e64 v4, 0, 1, vcc
	s_waitcnt lgkmcnt(2)
	v_cmp_gt_i32_e32 vcc, v2, v6
	v_cndmask_b32_e64 v6, 0, 1, vcc
	;; [unrolled: 3-line block ×4, first 2 shown]
	v_cmp_gt_i32_e32 vcc, v2, v5
	v_addc_co_u32_e32 v1, vcc, v1, v4, vcc
	v_cmp_gt_i32_e32 vcc, v2, v7
	v_addc_co_u32_e32 v1, vcc, v1, v6, vcc
	;; [unrolled: 2-line block ×3, first 2 shown]
	s_add_i32 s11, s11, 32
	v_cmp_gt_i32_e32 vcc, v2, v11
	s_cmp_eq_u32 s9, s10
	v_addc_co_u32_e32 v1, vcc, v1, v10, vcc
	s_cbranch_scc0 .LBB11_56
; %bb.57:                               ;   in Loop: Header=BB11_54 Depth=1
	s_mov_b32 s10, s9
.LBB11_58:                              ;   in Loop: Header=BB11_54 Depth=1
	s_and_b64 vcc, exec, s[2:3]
	s_cbranch_vccnz .LBB11_53
; %bb.59:                               ;   in Loop: Header=BB11_54 Depth=1
	s_lshl_b32 s10, s10, 2
	s_add_i32 s10, s10, 0
	s_mov_b32 s11, s8
.LBB11_60:                              ;   Parent Loop BB11_54 Depth=1
                                        ; =>  This Inner Loop Header: Depth=2
	v_mov_b32_e32 v4, s10
	ds_read_b32 v4, v4
	s_add_i32 s10, s10, 4
	s_add_i32 s11, s11, -1
	s_cmp_lg_u32 s11, 0
	s_waitcnt lgkmcnt(0)
	v_cmp_gt_i32_e32 vcc, v2, v4
	v_addc_co_u32_e32 v1, vcc, 0, v1, vcc
	s_cbranch_scc1 .LBB11_60
	s_branch .LBB11_53
.LBB11_61:
	s_endpgm
	.section	.rodata,"a",@progbits
	.p2align	6, 0x0
	.amdhsa_kernel _ZN9rocsparseL35csrgemm_symbolic_fill_block_per_rowILj512ELj32ELj1024ELj137ELj64EiiEEvT5_PKS1_S3_PKT4_S3_S6_S3_S6_S3_S6_PS1_21rocsparse_index_base_S8_S8_S8_bb
		.amdhsa_group_segment_fixed_size 0
		.amdhsa_private_segment_fixed_size 0
		.amdhsa_kernarg_size 108
		.amdhsa_user_sgpr_count 6
		.amdhsa_user_sgpr_private_segment_buffer 1
		.amdhsa_user_sgpr_dispatch_ptr 0
		.amdhsa_user_sgpr_queue_ptr 0
		.amdhsa_user_sgpr_kernarg_segment_ptr 1
		.amdhsa_user_sgpr_dispatch_id 0
		.amdhsa_user_sgpr_flat_scratch_init 0
		.amdhsa_user_sgpr_private_segment_size 0
		.amdhsa_uses_dynamic_stack 0
		.amdhsa_system_sgpr_private_segment_wavefront_offset 0
		.amdhsa_system_sgpr_workgroup_id_x 1
		.amdhsa_system_sgpr_workgroup_id_y 0
		.amdhsa_system_sgpr_workgroup_id_z 0
		.amdhsa_system_sgpr_workgroup_info 0
		.amdhsa_system_vgpr_workitem_id 0
		.amdhsa_next_free_vgpr 13
		.amdhsa_next_free_sgpr 41
		.amdhsa_reserve_vcc 1
		.amdhsa_reserve_flat_scratch 0
		.amdhsa_float_round_mode_32 0
		.amdhsa_float_round_mode_16_64 0
		.amdhsa_float_denorm_mode_32 3
		.amdhsa_float_denorm_mode_16_64 3
		.amdhsa_dx10_clamp 1
		.amdhsa_ieee_mode 1
		.amdhsa_fp16_overflow 0
		.amdhsa_exception_fp_ieee_invalid_op 0
		.amdhsa_exception_fp_denorm_src 0
		.amdhsa_exception_fp_ieee_div_zero 0
		.amdhsa_exception_fp_ieee_overflow 0
		.amdhsa_exception_fp_ieee_underflow 0
		.amdhsa_exception_fp_ieee_inexact 0
		.amdhsa_exception_int_div_zero 0
	.end_amdhsa_kernel
	.section	.text._ZN9rocsparseL35csrgemm_symbolic_fill_block_per_rowILj512ELj32ELj1024ELj137ELj64EiiEEvT5_PKS1_S3_PKT4_S3_S6_S3_S6_S3_S6_PS1_21rocsparse_index_base_S8_S8_S8_bb,"axG",@progbits,_ZN9rocsparseL35csrgemm_symbolic_fill_block_per_rowILj512ELj32ELj1024ELj137ELj64EiiEEvT5_PKS1_S3_PKT4_S3_S6_S3_S6_S3_S6_PS1_21rocsparse_index_base_S8_S8_S8_bb,comdat
.Lfunc_end11:
	.size	_ZN9rocsparseL35csrgemm_symbolic_fill_block_per_rowILj512ELj32ELj1024ELj137ELj64EiiEEvT5_PKS1_S3_PKT4_S3_S6_S3_S6_S3_S6_PS1_21rocsparse_index_base_S8_S8_S8_bb, .Lfunc_end11-_ZN9rocsparseL35csrgemm_symbolic_fill_block_per_rowILj512ELj32ELj1024ELj137ELj64EiiEEvT5_PKS1_S3_PKT4_S3_S6_S3_S6_S3_S6_PS1_21rocsparse_index_base_S8_S8_S8_bb
                                        ; -- End function
	.set _ZN9rocsparseL35csrgemm_symbolic_fill_block_per_rowILj512ELj32ELj1024ELj137ELj64EiiEEvT5_PKS1_S3_PKT4_S3_S6_S3_S6_S3_S6_PS1_21rocsparse_index_base_S8_S8_S8_bb.num_vgpr, 13
	.set _ZN9rocsparseL35csrgemm_symbolic_fill_block_per_rowILj512ELj32ELj1024ELj137ELj64EiiEEvT5_PKS1_S3_PKT4_S3_S6_S3_S6_S3_S6_PS1_21rocsparse_index_base_S8_S8_S8_bb.num_agpr, 0
	.set _ZN9rocsparseL35csrgemm_symbolic_fill_block_per_rowILj512ELj32ELj1024ELj137ELj64EiiEEvT5_PKS1_S3_PKT4_S3_S6_S3_S6_S3_S6_PS1_21rocsparse_index_base_S8_S8_S8_bb.numbered_sgpr, 41
	.set _ZN9rocsparseL35csrgemm_symbolic_fill_block_per_rowILj512ELj32ELj1024ELj137ELj64EiiEEvT5_PKS1_S3_PKT4_S3_S6_S3_S6_S3_S6_PS1_21rocsparse_index_base_S8_S8_S8_bb.num_named_barrier, 0
	.set _ZN9rocsparseL35csrgemm_symbolic_fill_block_per_rowILj512ELj32ELj1024ELj137ELj64EiiEEvT5_PKS1_S3_PKT4_S3_S6_S3_S6_S3_S6_PS1_21rocsparse_index_base_S8_S8_S8_bb.private_seg_size, 0
	.set _ZN9rocsparseL35csrgemm_symbolic_fill_block_per_rowILj512ELj32ELj1024ELj137ELj64EiiEEvT5_PKS1_S3_PKT4_S3_S6_S3_S6_S3_S6_PS1_21rocsparse_index_base_S8_S8_S8_bb.uses_vcc, 1
	.set _ZN9rocsparseL35csrgemm_symbolic_fill_block_per_rowILj512ELj32ELj1024ELj137ELj64EiiEEvT5_PKS1_S3_PKT4_S3_S6_S3_S6_S3_S6_PS1_21rocsparse_index_base_S8_S8_S8_bb.uses_flat_scratch, 0
	.set _ZN9rocsparseL35csrgemm_symbolic_fill_block_per_rowILj512ELj32ELj1024ELj137ELj64EiiEEvT5_PKS1_S3_PKT4_S3_S6_S3_S6_S3_S6_PS1_21rocsparse_index_base_S8_S8_S8_bb.has_dyn_sized_stack, 0
	.set _ZN9rocsparseL35csrgemm_symbolic_fill_block_per_rowILj512ELj32ELj1024ELj137ELj64EiiEEvT5_PKS1_S3_PKT4_S3_S6_S3_S6_S3_S6_PS1_21rocsparse_index_base_S8_S8_S8_bb.has_recursion, 0
	.set _ZN9rocsparseL35csrgemm_symbolic_fill_block_per_rowILj512ELj32ELj1024ELj137ELj64EiiEEvT5_PKS1_S3_PKT4_S3_S6_S3_S6_S3_S6_PS1_21rocsparse_index_base_S8_S8_S8_bb.has_indirect_call, 0
	.section	.AMDGPU.csdata,"",@progbits
; Kernel info:
; codeLenInByte = 2052
; TotalNumSgprs: 45
; NumVgprs: 13
; ScratchSize: 0
; MemoryBound: 0
; FloatMode: 240
; IeeeMode: 1
; LDSByteSize: 0 bytes/workgroup (compile time only)
; SGPRBlocks: 5
; VGPRBlocks: 3
; NumSGPRsForWavesPerEU: 45
; NumVGPRsForWavesPerEU: 13
; Occupancy: 10
; WaveLimiterHint : 1
; COMPUTE_PGM_RSRC2:SCRATCH_EN: 0
; COMPUTE_PGM_RSRC2:USER_SGPR: 6
; COMPUTE_PGM_RSRC2:TRAP_HANDLER: 0
; COMPUTE_PGM_RSRC2:TGID_X_EN: 1
; COMPUTE_PGM_RSRC2:TGID_Y_EN: 0
; COMPUTE_PGM_RSRC2:TGID_Z_EN: 0
; COMPUTE_PGM_RSRC2:TIDIG_COMP_CNT: 0
	.section	.text._ZN9rocsparseL35csrgemm_symbolic_fill_block_per_rowILj1024ELj32ELj2048ELj137ELj32EiiEEvT5_PKS1_S3_PKT4_S3_S6_S3_S6_S3_S6_PS1_21rocsparse_index_base_S8_S8_S8_bb,"axG",@progbits,_ZN9rocsparseL35csrgemm_symbolic_fill_block_per_rowILj1024ELj32ELj2048ELj137ELj32EiiEEvT5_PKS1_S3_PKT4_S3_S6_S3_S6_S3_S6_PS1_21rocsparse_index_base_S8_S8_S8_bb,comdat
	.globl	_ZN9rocsparseL35csrgemm_symbolic_fill_block_per_rowILj1024ELj32ELj2048ELj137ELj32EiiEEvT5_PKS1_S3_PKT4_S3_S6_S3_S6_S3_S6_PS1_21rocsparse_index_base_S8_S8_S8_bb ; -- Begin function _ZN9rocsparseL35csrgemm_symbolic_fill_block_per_rowILj1024ELj32ELj2048ELj137ELj32EiiEEvT5_PKS1_S3_PKT4_S3_S6_S3_S6_S3_S6_PS1_21rocsparse_index_base_S8_S8_S8_bb
	.p2align	8
	.type	_ZN9rocsparseL35csrgemm_symbolic_fill_block_per_rowILj1024ELj32ELj2048ELj137ELj32EiiEEvT5_PKS1_S3_PKT4_S3_S6_S3_S6_S3_S6_PS1_21rocsparse_index_base_S8_S8_S8_bb,@function
_ZN9rocsparseL35csrgemm_symbolic_fill_block_per_rowILj1024ELj32ELj2048ELj137ELj32EiiEEvT5_PKS1_S3_PKT4_S3_S6_S3_S6_S3_S6_PS1_21rocsparse_index_base_S8_S8_S8_bb: ; @_ZN9rocsparseL35csrgemm_symbolic_fill_block_per_rowILj1024ELj32ELj2048ELj137ELj32EiiEEvT5_PKS1_S3_PKT4_S3_S6_S3_S6_S3_S6_PS1_21rocsparse_index_base_S8_S8_S8_bb
; %bb.0:
	s_load_dwordx4 s[68:71], s[4:5], 0x48
	s_load_dwordx8 s[8:15], s[4:5], 0x28
	s_load_dword s33, s[4:5], 0x0
	s_load_dwordx8 s[16:23], s[4:5], 0x8
	v_or_b32_e32 v4, 0xfffffc00, v0
	v_lshl_add_u32 v5, v0, 2, 0
	s_mov_b64 s[0:1], 0
	s_waitcnt lgkmcnt(0)
	v_mov_b32_e32 v1, s33
	v_mov_b32_e32 v2, v5
	;; [unrolled: 1-line block ×3, first 2 shown]
.LBB12_1:                               ; =>This Inner Loop Header: Depth=1
	v_add_co_u32_e32 v3, vcc, 0x400, v3
	s_xor_b64 s[2:3], vcc, -1
	s_and_b64 s[2:3], exec, s[2:3]
	ds_write_b32 v2, v1
	s_or_b64 s[0:1], s[2:3], s[0:1]
	v_add_u32_e32 v2, 0x1000, v2
	s_andn2_b64 exec, exec, s[0:1]
	s_cbranch_execnz .LBB12_1
; %bb.2:
	s_or_b64 exec, exec, s[0:1]
	s_load_dword s28, s[4:5], 0x68
	s_waitcnt lgkmcnt(0)
	s_barrier
	s_load_dword s2, s[16:17], 0x0
	s_load_dwordx4 s[64:67], s[4:5], 0x58
	s_bitcmp1_b32 s28, 0
	s_cselect_b64 s[0:1], -1, 0
	s_mov_b32 s3, 0
	s_waitcnt lgkmcnt(0)
	s_add_i32 s2, s2, s6
	s_lshl_b64 s[2:3], s[2:3], 2
	s_add_u32 s2, s18, s2
	s_addc_u32 s3, s19, s3
	s_load_dword s72, s[2:3], 0x0
	v_lshrrev_b32_e32 v6, 5, v0
	s_and_b64 vcc, exec, s[0:1]
	s_cbranch_vccz .LBB12_18
; %bb.3:
	s_waitcnt lgkmcnt(0)
	s_ashr_i32 s73, s72, 31
	s_lshl_b64 s[0:1], s[72:73], 2
	s_add_u32 s0, s20, s0
	s_addc_u32 s1, s21, s1
	s_load_dwordx2 s[2:3], s[0:1], 0x0
	v_subrev_u32_e32 v1, s64, v6
	s_waitcnt lgkmcnt(0)
	s_sub_i32 s29, s3, s64
	v_add_u32_e32 v1, s2, v1
	v_cmp_gt_i32_e32 vcc, s29, v1
	s_and_saveexec_b64 s[0:1], vcc
	s_cbranch_execz .LBB12_17
; %bb.4:
	v_and_b32_e32 v2, 31, v0
	v_subrev_u32_e32 v7, s65, v2
	s_mov_b64 s[2:3], 0
	v_mov_b32_e32 v8, s23
	v_mov_b32_e32 v9, s9
	s_movk_i32 s9, 0x89
	s_branch .LBB12_6
.LBB12_5:                               ;   in Loop: Header=BB12_6 Depth=1
	s_or_b64 exec, exec, s[4:5]
	v_add_u32_e32 v1, 32, v1
	v_cmp_le_i32_e32 vcc, s29, v1
	s_or_b64 s[2:3], vcc, s[2:3]
	s_andn2_b64 exec, exec, s[2:3]
	s_cbranch_execz .LBB12_17
.LBB12_6:                               ; =>This Loop Header: Depth=1
                                        ;     Child Loop BB12_9 Depth 2
                                        ;       Child Loop BB12_12 Depth 3
	v_ashrrev_i32_e32 v2, 31, v1
	v_lshlrev_b64 v[2:3], 2, v[1:2]
	v_add_co_u32_e32 v2, vcc, s22, v2
	v_addc_co_u32_e32 v3, vcc, v8, v3, vcc
	global_load_dword v2, v[2:3], off
	s_waitcnt vmcnt(0)
	v_subrev_u32_e32 v2, s64, v2
	v_ashrrev_i32_e32 v3, 31, v2
	v_lshlrev_b64 v[2:3], 2, v[2:3]
	v_add_co_u32_e32 v2, vcc, s8, v2
	v_addc_co_u32_e32 v3, vcc, v9, v3, vcc
	global_load_dwordx2 v[2:3], v[2:3], off
	s_waitcnt vmcnt(0)
	v_subrev_u32_e32 v10, s65, v3
	v_add_u32_e32 v2, v2, v7
	v_cmp_lt_i32_e32 vcc, v2, v10
	s_and_saveexec_b64 s[4:5], vcc
	s_cbranch_execz .LBB12_5
; %bb.7:                                ;   in Loop: Header=BB12_6 Depth=1
	s_mov_b64 s[6:7], 0
	s_branch .LBB12_9
.LBB12_8:                               ;   in Loop: Header=BB12_9 Depth=2
	s_or_b64 exec, exec, s[16:17]
	v_add_u32_e32 v2, 32, v2
	v_cmp_ge_i32_e32 vcc, v2, v10
	s_or_b64 s[6:7], vcc, s[6:7]
	s_andn2_b64 exec, exec, s[6:7]
	s_cbranch_execz .LBB12_5
.LBB12_9:                               ;   Parent Loop BB12_6 Depth=1
                                        ; =>  This Loop Header: Depth=2
                                        ;       Child Loop BB12_12 Depth 3
	v_ashrrev_i32_e32 v3, 31, v2
	v_lshlrev_b64 v[11:12], 2, v[2:3]
	v_mov_b32_e32 v3, s11
	v_add_co_u32_e32 v11, vcc, s10, v11
	v_addc_co_u32_e32 v12, vcc, v3, v12, vcc
	global_load_dword v3, v[11:12], off
	s_mov_b64 s[16:17], 0
                                        ; implicit-def: $sgpr18_sgpr19
	s_waitcnt vmcnt(0)
	v_subrev_u32_e32 v3, s65, v3
	v_mul_lo_u32 v11, v3, s9
	v_and_b32_e32 v11, 0x7ff, v11
	s_branch .LBB12_12
.LBB12_10:                              ;   in Loop: Header=BB12_12 Depth=3
	s_or_b64 exec, exec, s[24:25]
	s_andn2_b64 s[18:19], s[18:19], exec
	s_and_b64 s[24:25], s[26:27], exec
	s_or_b64 s[18:19], s[18:19], s[24:25]
.LBB12_11:                              ;   in Loop: Header=BB12_12 Depth=3
	s_or_b64 exec, exec, s[20:21]
	s_xor_b64 s[20:21], s[18:19], -1
	s_and_b64 s[20:21], exec, s[20:21]
	s_or_b64 s[16:17], s[20:21], s[16:17]
	s_andn2_b64 exec, exec, s[16:17]
	s_cbranch_execz .LBB12_8
.LBB12_12:                              ;   Parent Loop BB12_6 Depth=1
                                        ;     Parent Loop BB12_9 Depth=2
                                        ; =>    This Inner Loop Header: Depth=3
	v_lshl_add_u32 v12, v11, 2, 0
	ds_read_b32 v13, v12
	s_andn2_b64 s[18:19], s[18:19], exec
	s_waitcnt lgkmcnt(0)
	v_cmp_ne_u32_e32 vcc, v13, v3
	s_and_saveexec_b64 s[20:21], vcc
	s_cbranch_execz .LBB12_11
; %bb.13:                               ;   in Loop: Header=BB12_12 Depth=3
	v_cmp_ne_u32_e32 vcc, s33, v13
	s_and_saveexec_b64 s[24:25], vcc
	s_xor_b64 s[24:25], exec, s[24:25]
; %bb.14:                               ;   in Loop: Header=BB12_12 Depth=3
	v_add_u32_e32 v11, 1, v11
	v_and_b32_e32 v11, 0x7ff, v11
                                        ; implicit-def: $vgpr12
; %bb.15:                               ;   in Loop: Header=BB12_12 Depth=3
	s_or_saveexec_b64 s[24:25], s[24:25]
	s_mov_b64 s[26:27], -1
	s_xor_b64 exec, exec, s[24:25]
	s_cbranch_execz .LBB12_10
; %bb.16:                               ;   in Loop: Header=BB12_12 Depth=3
	v_mov_b32_e32 v13, s33
	ds_cmpst_rtn_b32 v12, v12, v13, v3
	s_waitcnt lgkmcnt(0)
	v_cmp_ne_u32_e32 vcc, s33, v12
	s_orn2_b64 s[26:27], vcc, exec
	s_branch .LBB12_10
.LBB12_17:
	s_or_b64 exec, exec, s[0:1]
.LBB12_18:
	s_bfe_u32 s0, s28, 0x10008
	s_cmp_eq_u32 s0, 0
	s_cbranch_scc1 .LBB12_31
; %bb.19:
	s_waitcnt lgkmcnt(0)
	s_ashr_i32 s73, s72, 31
	s_lshl_b64 s[0:1], s[72:73], 2
	s_add_u32 s0, s12, s0
	s_addc_u32 s1, s13, s1
	s_load_dwordx2 s[2:3], s[0:1], 0x0
	v_subrev_u32_e32 v1, s67, v0
	s_waitcnt lgkmcnt(0)
	s_sub_i32 s16, s3, s67
	v_add_u32_e32 v1, s2, v1
	v_cmp_gt_i32_e32 vcc, s16, v1
	s_and_saveexec_b64 s[0:1], vcc
	s_cbranch_execz .LBB12_30
; %bb.20:
	s_mov_b64 s[2:3], 0
	v_mov_b32_e32 v3, s15
	s_movk_i32 s15, 0x89
	s_branch .LBB12_22
.LBB12_21:                              ;   in Loop: Header=BB12_22 Depth=1
	s_or_b64 exec, exec, s[4:5]
	v_add_u32_e32 v1, 0x400, v1
	v_cmp_le_i32_e32 vcc, s16, v1
	s_or_b64 s[2:3], vcc, s[2:3]
	s_andn2_b64 exec, exec, s[2:3]
	s_cbranch_execz .LBB12_30
.LBB12_22:                              ; =>This Loop Header: Depth=1
                                        ;     Child Loop BB12_25 Depth 2
	v_ashrrev_i32_e32 v2, 31, v1
	v_lshlrev_b64 v[7:8], 2, v[1:2]
	s_mov_b64 s[4:5], 0
	v_add_co_u32_e32 v7, vcc, s14, v7
	v_addc_co_u32_e32 v8, vcc, v3, v8, vcc
	global_load_dword v2, v[7:8], off
                                        ; implicit-def: $sgpr6_sgpr7
	s_waitcnt vmcnt(0)
	v_subrev_u32_e32 v2, s67, v2
	v_mul_lo_u32 v7, v2, s15
	v_and_b32_e32 v7, 0x7ff, v7
	s_branch .LBB12_25
.LBB12_23:                              ;   in Loop: Header=BB12_25 Depth=2
	s_or_b64 exec, exec, s[10:11]
	s_andn2_b64 s[6:7], s[6:7], exec
	s_and_b64 s[10:11], s[12:13], exec
	s_or_b64 s[6:7], s[6:7], s[10:11]
.LBB12_24:                              ;   in Loop: Header=BB12_25 Depth=2
	s_or_b64 exec, exec, s[8:9]
	s_xor_b64 s[8:9], s[6:7], -1
	s_and_b64 s[8:9], exec, s[8:9]
	s_or_b64 s[4:5], s[8:9], s[4:5]
	s_andn2_b64 exec, exec, s[4:5]
	s_cbranch_execz .LBB12_21
.LBB12_25:                              ;   Parent Loop BB12_22 Depth=1
                                        ; =>  This Inner Loop Header: Depth=2
	v_lshl_add_u32 v8, v7, 2, 0
	ds_read_b32 v9, v8
	s_andn2_b64 s[6:7], s[6:7], exec
	s_waitcnt lgkmcnt(0)
	v_cmp_ne_u32_e32 vcc, v9, v2
	s_and_saveexec_b64 s[8:9], vcc
	s_cbranch_execz .LBB12_24
; %bb.26:                               ;   in Loop: Header=BB12_25 Depth=2
	v_cmp_ne_u32_e32 vcc, s33, v9
	s_and_saveexec_b64 s[10:11], vcc
	s_xor_b64 s[10:11], exec, s[10:11]
; %bb.27:                               ;   in Loop: Header=BB12_25 Depth=2
	v_add_u32_e32 v7, 1, v7
	v_and_b32_e32 v7, 0x7ff, v7
                                        ; implicit-def: $vgpr8
; %bb.28:                               ;   in Loop: Header=BB12_25 Depth=2
	s_or_saveexec_b64 s[10:11], s[10:11]
	s_mov_b64 s[12:13], -1
	s_xor_b64 exec, exec, s[10:11]
	s_cbranch_execz .LBB12_23
; %bb.29:                               ;   in Loop: Header=BB12_25 Depth=2
	v_mov_b32_e32 v9, s33
	ds_cmpst_rtn_b32 v8, v8, v9, v2
	s_waitcnt lgkmcnt(0)
	v_cmp_ne_u32_e32 vcc, s33, v8
	s_orn2_b64 s[12:13], vcc, exec
	s_branch .LBB12_23
.LBB12_30:
	s_or_b64 exec, exec, s[0:1]
.LBB12_31:
	v_mbcnt_lo_u32_b32 v1, -1, 0
	v_mbcnt_hi_u32_b32 v1, -1, v1
	v_sub_u32_e32 v1, 63, v1
	v_lshrrev_b64 v[1:2], v1, -1
	s_movk_i32 s0, 0x3ff
	s_movk_i32 s2, 0x5f
	;; [unrolled: 1-line block ×30, first 2 shown]
	v_mov_b32_e32 v3, 0
	v_lshl_add_u32 v6, v6, 2, 0
	v_cmp_eq_u32_e64 s[0:1], s0, v0
	v_cmp_lt_u32_e64 s[2:3], s2, v0
	v_cmp_lt_u32_e64 s[4:5], s4, v0
	;; [unrolled: 1-line block ×29, first 2 shown]
	v_mov_b32_e32 v7, 0
	v_cmp_lt_u32_e64 s[62:63], 31, v0
	v_cmp_lt_u32_e64 s[64:65], 63, v0
	s_mov_b64 s[74:75], 0
	s_waitcnt lgkmcnt(0)
	s_barrier
	s_branch .LBB12_33
.LBB12_32:                              ;   in Loop: Header=BB12_33 Depth=1
	s_or_b64 exec, exec, s[76:77]
	s_waitcnt lgkmcnt(0)
	s_barrier
	ds_read_b32 v8, v3 offset:8316
	v_add_co_u32_e32 v4, vcc, 0x400, v4
	s_xor_b64 s[76:77], vcc, -1
	s_and_b64 s[76:77], exec, s[76:77]
	s_waitcnt lgkmcnt(0)
	v_add_u32_e32 v7, v8, v7
	s_or_b64 s[74:75], s[76:77], s[74:75]
	v_add_u32_e32 v5, 0x1000, v5
	s_andn2_b64 exec, exec, s[74:75]
	s_cbranch_execz .LBB12_99
.LBB12_33:                              ; =>This Inner Loop Header: Depth=1
	ds_read_b32 v8, v5
	s_waitcnt lgkmcnt(0)
	s_barrier
	v_cmp_gt_i32_e32 vcc, s33, v8
	v_and_b32_e32 v10, vcc_lo, v1
	s_bcnt1_i32_b64 s67, vcc
	v_and_b32_e32 v9, vcc_hi, v2
	v_bcnt_u32_b32 v10, v10, 0
	v_bcnt_u32_b32 v9, v9, v10
	v_mov_b32_e32 v10, s67
	ds_write_b32 v6, v10 offset:8192
	s_waitcnt lgkmcnt(0)
	s_barrier
	s_and_saveexec_b64 s[76:77], s[62:63]
	s_cbranch_execnz .LBB12_66
; %bb.34:                               ;   in Loop: Header=BB12_33 Depth=1
	s_or_b64 exec, exec, s[76:77]
	s_and_saveexec_b64 s[76:77], s[64:65]
	s_cbranch_execnz .LBB12_67
.LBB12_35:                              ;   in Loop: Header=BB12_33 Depth=1
	s_or_b64 exec, exec, s[76:77]
	s_and_saveexec_b64 s[76:77], s[2:3]
	s_cbranch_execnz .LBB12_68
.LBB12_36:                              ;   in Loop: Header=BB12_33 Depth=1
	s_or_b64 exec, exec, s[76:77]
	s_and_saveexec_b64 s[76:77], s[4:5]
	s_cbranch_execnz .LBB12_69
.LBB12_37:                              ;   in Loop: Header=BB12_33 Depth=1
	s_or_b64 exec, exec, s[76:77]
	s_and_saveexec_b64 s[76:77], s[6:7]
	s_cbranch_execnz .LBB12_70
.LBB12_38:                              ;   in Loop: Header=BB12_33 Depth=1
	s_or_b64 exec, exec, s[76:77]
	s_and_saveexec_b64 s[76:77], s[8:9]
	s_cbranch_execnz .LBB12_71
.LBB12_39:                              ;   in Loop: Header=BB12_33 Depth=1
	s_or_b64 exec, exec, s[76:77]
	s_and_saveexec_b64 s[76:77], s[10:11]
	s_cbranch_execnz .LBB12_72
.LBB12_40:                              ;   in Loop: Header=BB12_33 Depth=1
	s_or_b64 exec, exec, s[76:77]
	s_and_saveexec_b64 s[76:77], s[12:13]
	s_cbranch_execnz .LBB12_73
.LBB12_41:                              ;   in Loop: Header=BB12_33 Depth=1
	s_or_b64 exec, exec, s[76:77]
	s_and_saveexec_b64 s[76:77], s[14:15]
	s_cbranch_execnz .LBB12_74
.LBB12_42:                              ;   in Loop: Header=BB12_33 Depth=1
	s_or_b64 exec, exec, s[76:77]
	s_and_saveexec_b64 s[76:77], s[16:17]
	s_cbranch_execnz .LBB12_75
.LBB12_43:                              ;   in Loop: Header=BB12_33 Depth=1
	s_or_b64 exec, exec, s[76:77]
	s_and_saveexec_b64 s[76:77], s[18:19]
	s_cbranch_execnz .LBB12_76
.LBB12_44:                              ;   in Loop: Header=BB12_33 Depth=1
	s_or_b64 exec, exec, s[76:77]
	s_and_saveexec_b64 s[76:77], s[20:21]
	s_cbranch_execnz .LBB12_77
.LBB12_45:                              ;   in Loop: Header=BB12_33 Depth=1
	s_or_b64 exec, exec, s[76:77]
	s_and_saveexec_b64 s[76:77], s[22:23]
	s_cbranch_execnz .LBB12_78
.LBB12_46:                              ;   in Loop: Header=BB12_33 Depth=1
	s_or_b64 exec, exec, s[76:77]
	s_and_saveexec_b64 s[76:77], s[24:25]
	s_cbranch_execnz .LBB12_79
.LBB12_47:                              ;   in Loop: Header=BB12_33 Depth=1
	s_or_b64 exec, exec, s[76:77]
	s_and_saveexec_b64 s[76:77], s[26:27]
	s_cbranch_execnz .LBB12_80
.LBB12_48:                              ;   in Loop: Header=BB12_33 Depth=1
	s_or_b64 exec, exec, s[76:77]
	s_and_saveexec_b64 s[76:77], s[28:29]
	s_cbranch_execnz .LBB12_81
.LBB12_49:                              ;   in Loop: Header=BB12_33 Depth=1
	s_or_b64 exec, exec, s[76:77]
	s_and_saveexec_b64 s[76:77], s[30:31]
	s_cbranch_execnz .LBB12_82
.LBB12_50:                              ;   in Loop: Header=BB12_33 Depth=1
	s_or_b64 exec, exec, s[76:77]
	s_and_saveexec_b64 s[76:77], s[34:35]
	s_cbranch_execnz .LBB12_83
.LBB12_51:                              ;   in Loop: Header=BB12_33 Depth=1
	s_or_b64 exec, exec, s[76:77]
	s_and_saveexec_b64 s[76:77], s[36:37]
	s_cbranch_execnz .LBB12_84
.LBB12_52:                              ;   in Loop: Header=BB12_33 Depth=1
	s_or_b64 exec, exec, s[76:77]
	s_and_saveexec_b64 s[76:77], s[38:39]
	s_cbranch_execnz .LBB12_85
.LBB12_53:                              ;   in Loop: Header=BB12_33 Depth=1
	s_or_b64 exec, exec, s[76:77]
	s_and_saveexec_b64 s[76:77], s[40:41]
	s_cbranch_execnz .LBB12_86
.LBB12_54:                              ;   in Loop: Header=BB12_33 Depth=1
	s_or_b64 exec, exec, s[76:77]
	s_and_saveexec_b64 s[76:77], s[42:43]
	s_cbranch_execnz .LBB12_87
.LBB12_55:                              ;   in Loop: Header=BB12_33 Depth=1
	s_or_b64 exec, exec, s[76:77]
	s_and_saveexec_b64 s[76:77], s[44:45]
	s_cbranch_execnz .LBB12_88
.LBB12_56:                              ;   in Loop: Header=BB12_33 Depth=1
	s_or_b64 exec, exec, s[76:77]
	s_and_saveexec_b64 s[76:77], s[46:47]
	s_cbranch_execnz .LBB12_89
.LBB12_57:                              ;   in Loop: Header=BB12_33 Depth=1
	s_or_b64 exec, exec, s[76:77]
	s_and_saveexec_b64 s[76:77], s[48:49]
	s_cbranch_execnz .LBB12_90
.LBB12_58:                              ;   in Loop: Header=BB12_33 Depth=1
	s_or_b64 exec, exec, s[76:77]
	s_and_saveexec_b64 s[76:77], s[50:51]
	s_cbranch_execnz .LBB12_91
.LBB12_59:                              ;   in Loop: Header=BB12_33 Depth=1
	s_or_b64 exec, exec, s[76:77]
	s_and_saveexec_b64 s[76:77], s[52:53]
	s_cbranch_execnz .LBB12_92
.LBB12_60:                              ;   in Loop: Header=BB12_33 Depth=1
	s_or_b64 exec, exec, s[76:77]
	s_and_saveexec_b64 s[76:77], s[54:55]
	s_cbranch_execnz .LBB12_93
.LBB12_61:                              ;   in Loop: Header=BB12_33 Depth=1
	s_or_b64 exec, exec, s[76:77]
	s_and_saveexec_b64 s[76:77], s[56:57]
	s_cbranch_execnz .LBB12_94
.LBB12_62:                              ;   in Loop: Header=BB12_33 Depth=1
	s_or_b64 exec, exec, s[76:77]
	s_and_saveexec_b64 s[76:77], s[58:59]
	s_cbranch_execnz .LBB12_95
.LBB12_63:                              ;   in Loop: Header=BB12_33 Depth=1
	s_or_b64 exec, exec, s[76:77]
	s_and_saveexec_b64 s[76:77], s[60:61]
	s_cbranch_execnz .LBB12_96
.LBB12_64:                              ;   in Loop: Header=BB12_33 Depth=1
	s_or_b64 exec, exec, s[76:77]
	s_and_saveexec_b64 s[76:77], vcc
	s_cbranch_execnz .LBB12_97
.LBB12_65:                              ;   in Loop: Header=BB12_33 Depth=1
	s_or_b64 exec, exec, s[76:77]
	s_and_saveexec_b64 s[76:77], s[0:1]
	s_cbranch_execz .LBB12_32
	s_branch .LBB12_98
.LBB12_66:                              ;   in Loop: Header=BB12_33 Depth=1
	ds_read_b32 v10, v3 offset:8192
	s_waitcnt lgkmcnt(0)
	v_add_u32_e32 v9, v10, v9
	s_or_b64 exec, exec, s[76:77]
	s_and_saveexec_b64 s[76:77], s[64:65]
	s_cbranch_execz .LBB12_35
.LBB12_67:                              ;   in Loop: Header=BB12_33 Depth=1
	ds_read_b32 v10, v3 offset:8196
	s_waitcnt lgkmcnt(0)
	v_add_u32_e32 v9, v10, v9
	s_or_b64 exec, exec, s[76:77]
	s_and_saveexec_b64 s[76:77], s[2:3]
	s_cbranch_execz .LBB12_36
.LBB12_68:                              ;   in Loop: Header=BB12_33 Depth=1
	ds_read_b32 v10, v3 offset:8200
	s_waitcnt lgkmcnt(0)
	v_add_u32_e32 v9, v10, v9
	s_or_b64 exec, exec, s[76:77]
	s_and_saveexec_b64 s[76:77], s[4:5]
	s_cbranch_execz .LBB12_37
.LBB12_69:                              ;   in Loop: Header=BB12_33 Depth=1
	ds_read_b32 v10, v3 offset:8204
	s_waitcnt lgkmcnt(0)
	v_add_u32_e32 v9, v10, v9
	s_or_b64 exec, exec, s[76:77]
	s_and_saveexec_b64 s[76:77], s[6:7]
	s_cbranch_execz .LBB12_38
.LBB12_70:                              ;   in Loop: Header=BB12_33 Depth=1
	ds_read_b32 v10, v3 offset:8208
	s_waitcnt lgkmcnt(0)
	v_add_u32_e32 v9, v10, v9
	s_or_b64 exec, exec, s[76:77]
	s_and_saveexec_b64 s[76:77], s[8:9]
	s_cbranch_execz .LBB12_39
.LBB12_71:                              ;   in Loop: Header=BB12_33 Depth=1
	ds_read_b32 v10, v3 offset:8212
	s_waitcnt lgkmcnt(0)
	v_add_u32_e32 v9, v10, v9
	s_or_b64 exec, exec, s[76:77]
	s_and_saveexec_b64 s[76:77], s[10:11]
	s_cbranch_execz .LBB12_40
.LBB12_72:                              ;   in Loop: Header=BB12_33 Depth=1
	ds_read_b32 v10, v3 offset:8216
	s_waitcnt lgkmcnt(0)
	v_add_u32_e32 v9, v10, v9
	s_or_b64 exec, exec, s[76:77]
	s_and_saveexec_b64 s[76:77], s[12:13]
	s_cbranch_execz .LBB12_41
.LBB12_73:                              ;   in Loop: Header=BB12_33 Depth=1
	ds_read_b32 v10, v3 offset:8220
	s_waitcnt lgkmcnt(0)
	v_add_u32_e32 v9, v10, v9
	s_or_b64 exec, exec, s[76:77]
	s_and_saveexec_b64 s[76:77], s[14:15]
	s_cbranch_execz .LBB12_42
.LBB12_74:                              ;   in Loop: Header=BB12_33 Depth=1
	ds_read_b32 v10, v3 offset:8224
	s_waitcnt lgkmcnt(0)
	v_add_u32_e32 v9, v10, v9
	s_or_b64 exec, exec, s[76:77]
	s_and_saveexec_b64 s[76:77], s[16:17]
	s_cbranch_execz .LBB12_43
.LBB12_75:                              ;   in Loop: Header=BB12_33 Depth=1
	ds_read_b32 v10, v3 offset:8228
	s_waitcnt lgkmcnt(0)
	v_add_u32_e32 v9, v10, v9
	s_or_b64 exec, exec, s[76:77]
	s_and_saveexec_b64 s[76:77], s[18:19]
	s_cbranch_execz .LBB12_44
.LBB12_76:                              ;   in Loop: Header=BB12_33 Depth=1
	ds_read_b32 v10, v3 offset:8232
	s_waitcnt lgkmcnt(0)
	v_add_u32_e32 v9, v10, v9
	s_or_b64 exec, exec, s[76:77]
	s_and_saveexec_b64 s[76:77], s[20:21]
	s_cbranch_execz .LBB12_45
.LBB12_77:                              ;   in Loop: Header=BB12_33 Depth=1
	ds_read_b32 v10, v3 offset:8236
	s_waitcnt lgkmcnt(0)
	v_add_u32_e32 v9, v10, v9
	s_or_b64 exec, exec, s[76:77]
	s_and_saveexec_b64 s[76:77], s[22:23]
	s_cbranch_execz .LBB12_46
.LBB12_78:                              ;   in Loop: Header=BB12_33 Depth=1
	ds_read_b32 v10, v3 offset:8240
	s_waitcnt lgkmcnt(0)
	v_add_u32_e32 v9, v10, v9
	s_or_b64 exec, exec, s[76:77]
	s_and_saveexec_b64 s[76:77], s[24:25]
	s_cbranch_execz .LBB12_47
.LBB12_79:                              ;   in Loop: Header=BB12_33 Depth=1
	ds_read_b32 v10, v3 offset:8244
	s_waitcnt lgkmcnt(0)
	v_add_u32_e32 v9, v10, v9
	s_or_b64 exec, exec, s[76:77]
	s_and_saveexec_b64 s[76:77], s[26:27]
	s_cbranch_execz .LBB12_48
.LBB12_80:                              ;   in Loop: Header=BB12_33 Depth=1
	ds_read_b32 v10, v3 offset:8248
	s_waitcnt lgkmcnt(0)
	v_add_u32_e32 v9, v10, v9
	s_or_b64 exec, exec, s[76:77]
	s_and_saveexec_b64 s[76:77], s[28:29]
	s_cbranch_execz .LBB12_49
.LBB12_81:                              ;   in Loop: Header=BB12_33 Depth=1
	ds_read_b32 v10, v3 offset:8252
	s_waitcnt lgkmcnt(0)
	v_add_u32_e32 v9, v10, v9
	s_or_b64 exec, exec, s[76:77]
	s_and_saveexec_b64 s[76:77], s[30:31]
	s_cbranch_execz .LBB12_50
.LBB12_82:                              ;   in Loop: Header=BB12_33 Depth=1
	ds_read_b32 v10, v3 offset:8256
	s_waitcnt lgkmcnt(0)
	v_add_u32_e32 v9, v10, v9
	s_or_b64 exec, exec, s[76:77]
	s_and_saveexec_b64 s[76:77], s[34:35]
	s_cbranch_execz .LBB12_51
.LBB12_83:                              ;   in Loop: Header=BB12_33 Depth=1
	ds_read_b32 v10, v3 offset:8260
	s_waitcnt lgkmcnt(0)
	v_add_u32_e32 v9, v10, v9
	s_or_b64 exec, exec, s[76:77]
	s_and_saveexec_b64 s[76:77], s[36:37]
	s_cbranch_execz .LBB12_52
.LBB12_84:                              ;   in Loop: Header=BB12_33 Depth=1
	ds_read_b32 v10, v3 offset:8264
	s_waitcnt lgkmcnt(0)
	v_add_u32_e32 v9, v10, v9
	s_or_b64 exec, exec, s[76:77]
	s_and_saveexec_b64 s[76:77], s[38:39]
	s_cbranch_execz .LBB12_53
.LBB12_85:                              ;   in Loop: Header=BB12_33 Depth=1
	ds_read_b32 v10, v3 offset:8268
	s_waitcnt lgkmcnt(0)
	v_add_u32_e32 v9, v10, v9
	s_or_b64 exec, exec, s[76:77]
	s_and_saveexec_b64 s[76:77], s[40:41]
	s_cbranch_execz .LBB12_54
.LBB12_86:                              ;   in Loop: Header=BB12_33 Depth=1
	ds_read_b32 v10, v3 offset:8272
	s_waitcnt lgkmcnt(0)
	v_add_u32_e32 v9, v10, v9
	s_or_b64 exec, exec, s[76:77]
	s_and_saveexec_b64 s[76:77], s[42:43]
	s_cbranch_execz .LBB12_55
.LBB12_87:                              ;   in Loop: Header=BB12_33 Depth=1
	ds_read_b32 v10, v3 offset:8276
	s_waitcnt lgkmcnt(0)
	v_add_u32_e32 v9, v10, v9
	s_or_b64 exec, exec, s[76:77]
	s_and_saveexec_b64 s[76:77], s[44:45]
	s_cbranch_execz .LBB12_56
.LBB12_88:                              ;   in Loop: Header=BB12_33 Depth=1
	ds_read_b32 v10, v3 offset:8280
	s_waitcnt lgkmcnt(0)
	v_add_u32_e32 v9, v10, v9
	s_or_b64 exec, exec, s[76:77]
	s_and_saveexec_b64 s[76:77], s[46:47]
	s_cbranch_execz .LBB12_57
.LBB12_89:                              ;   in Loop: Header=BB12_33 Depth=1
	ds_read_b32 v10, v3 offset:8284
	s_waitcnt lgkmcnt(0)
	v_add_u32_e32 v9, v10, v9
	s_or_b64 exec, exec, s[76:77]
	s_and_saveexec_b64 s[76:77], s[48:49]
	s_cbranch_execz .LBB12_58
.LBB12_90:                              ;   in Loop: Header=BB12_33 Depth=1
	ds_read_b32 v10, v3 offset:8288
	s_waitcnt lgkmcnt(0)
	v_add_u32_e32 v9, v10, v9
	s_or_b64 exec, exec, s[76:77]
	s_and_saveexec_b64 s[76:77], s[50:51]
	s_cbranch_execz .LBB12_59
.LBB12_91:                              ;   in Loop: Header=BB12_33 Depth=1
	ds_read_b32 v10, v3 offset:8292
	s_waitcnt lgkmcnt(0)
	v_add_u32_e32 v9, v10, v9
	s_or_b64 exec, exec, s[76:77]
	s_and_saveexec_b64 s[76:77], s[52:53]
	s_cbranch_execz .LBB12_60
.LBB12_92:                              ;   in Loop: Header=BB12_33 Depth=1
	ds_read_b32 v10, v3 offset:8296
	s_waitcnt lgkmcnt(0)
	v_add_u32_e32 v9, v10, v9
	s_or_b64 exec, exec, s[76:77]
	s_and_saveexec_b64 s[76:77], s[54:55]
	s_cbranch_execz .LBB12_61
.LBB12_93:                              ;   in Loop: Header=BB12_33 Depth=1
	ds_read_b32 v10, v3 offset:8300
	s_waitcnt lgkmcnt(0)
	v_add_u32_e32 v9, v10, v9
	s_or_b64 exec, exec, s[76:77]
	s_and_saveexec_b64 s[76:77], s[56:57]
	s_cbranch_execz .LBB12_62
.LBB12_94:                              ;   in Loop: Header=BB12_33 Depth=1
	ds_read_b32 v10, v3 offset:8304
	s_waitcnt lgkmcnt(0)
	v_add_u32_e32 v9, v10, v9
	s_or_b64 exec, exec, s[76:77]
	s_and_saveexec_b64 s[76:77], s[58:59]
	s_cbranch_execz .LBB12_63
.LBB12_95:                              ;   in Loop: Header=BB12_33 Depth=1
	ds_read_b32 v10, v3 offset:8308
	s_waitcnt lgkmcnt(0)
	v_add_u32_e32 v9, v10, v9
	s_or_b64 exec, exec, s[76:77]
	s_and_saveexec_b64 s[76:77], s[60:61]
	s_cbranch_execz .LBB12_64
.LBB12_96:                              ;   in Loop: Header=BB12_33 Depth=1
	ds_read_b32 v10, v3 offset:8312
	s_waitcnt lgkmcnt(0)
	v_add_u32_e32 v9, v10, v9
	s_or_b64 exec, exec, s[76:77]
	s_and_saveexec_b64 s[76:77], vcc
	s_cbranch_execz .LBB12_65
.LBB12_97:                              ;   in Loop: Header=BB12_33 Depth=1
	v_lshlrev_b32_e32 v10, 2, v7
	v_add_u32_e32 v10, 0, v10
	v_lshlrev_b32_e32 v11, 2, v9
	v_add3_u32 v10, v10, v11, -4
	ds_write_b32 v10, v8
	s_or_b64 exec, exec, s[76:77]
	s_and_saveexec_b64 s[76:77], s[0:1]
	s_cbranch_execz .LBB12_32
.LBB12_98:                              ;   in Loop: Header=BB12_33 Depth=1
	ds_write_b32 v3, v9 offset:8316
	s_branch .LBB12_32
.LBB12_99:
	s_or_b64 exec, exec, s[74:75]
	s_ashr_i32 s73, s72, 31
	s_lshl_b64 s[0:1], s[72:73], 2
	s_add_u32 s2, s68, s0
	s_addc_u32 s3, s69, s1
	s_load_dwordx2 s[0:1], s[2:3], 0x0
	s_waitcnt lgkmcnt(0)
	s_sub_i32 s6, s1, s0
	v_cmp_gt_i32_e32 vcc, s6, v0
	s_and_saveexec_b64 s[2:3], vcc
	s_cbranch_execz .LBB12_109
; %bb.100:
	s_sub_i32 s7, s0, s66
	s_and_b32 s8, s6, 7
	s_sub_i32 s0, s0, s1
	s_cmp_lt_u32 s0, -7
	s_cselect_b64 s[0:1], -1, 0
	s_and_b32 s9, s6, -8
	s_cmp_lg_u32 s8, 0
	v_cndmask_b32_e64 v1, 0, 1, s[0:1]
	s_cselect_b64 s[2:3], -1, 0
	v_cmp_ne_u32_e64 s[0:1], 1, v1
	v_cndmask_b32_e64 v1, 0, 1, s[2:3]
	s_mov_b64 s[4:5], 0
	v_cmp_ne_u32_e64 s[2:3], 1, v1
	v_mov_b32_e32 v3, s71
	s_branch .LBB12_102
.LBB12_101:                             ;   in Loop: Header=BB12_102 Depth=1
	s_waitcnt lgkmcnt(0)
	v_add_u32_e32 v4, s66, v2
	v_ashrrev_i32_e32 v2, 31, v1
	v_lshlrev_b64 v[1:2], 2, v[1:2]
	v_add_u32_e32 v0, 0x400, v0
	v_add_co_u32_e32 v1, vcc, s70, v1
	v_addc_co_u32_e32 v2, vcc, v3, v2, vcc
	v_cmp_le_i32_e32 vcc, s6, v0
	s_or_b64 s[4:5], vcc, s[4:5]
	global_store_dword v[1:2], v4, off
	s_andn2_b64 exec, exec, s[4:5]
	s_cbranch_execz .LBB12_109
.LBB12_102:                             ; =>This Loop Header: Depth=1
                                        ;     Child Loop BB12_104 Depth 2
                                        ;     Child Loop BB12_108 Depth 2
	v_lshl_add_u32 v1, v0, 2, 0
	ds_read_b32 v2, v1
	s_and_b64 vcc, exec, s[0:1]
	v_mov_b32_e32 v1, s7
	s_mov_b32 s10, 0
	s_cbranch_vccnz .LBB12_106
; %bb.103:                              ;   in Loop: Header=BB12_102 Depth=1
	s_mov_b32 s11, 0
	v_mov_b32_e32 v1, s7
.LBB12_104:                             ;   Parent Loop BB12_102 Depth=1
                                        ; =>  This Inner Loop Header: Depth=2
	v_mov_b32_e32 v10, s11
	ds_read2_b32 v[4:5], v10 offset1:1
	ds_read2_b32 v[6:7], v10 offset0:2 offset1:3
	ds_read2_b32 v[8:9], v10 offset0:4 offset1:5
	ds_read2_b32 v[10:11], v10 offset0:6 offset1:7
	s_add_i32 s10, s10, 8
	s_waitcnt lgkmcnt(3)
	v_cmp_gt_i32_e32 vcc, v2, v4
	v_cndmask_b32_e64 v4, 0, 1, vcc
	s_waitcnt lgkmcnt(2)
	v_cmp_gt_i32_e32 vcc, v2, v6
	v_cndmask_b32_e64 v6, 0, 1, vcc
	;; [unrolled: 3-line block ×4, first 2 shown]
	v_cmp_gt_i32_e32 vcc, v2, v5
	v_addc_co_u32_e32 v1, vcc, v1, v4, vcc
	v_cmp_gt_i32_e32 vcc, v2, v7
	v_addc_co_u32_e32 v1, vcc, v1, v6, vcc
	v_cmp_gt_i32_e32 vcc, v2, v9
	v_addc_co_u32_e32 v1, vcc, v1, v8, vcc
	s_add_i32 s11, s11, 32
	v_cmp_gt_i32_e32 vcc, v2, v11
	s_cmp_eq_u32 s9, s10
	v_addc_co_u32_e32 v1, vcc, v1, v10, vcc
	s_cbranch_scc0 .LBB12_104
; %bb.105:                              ;   in Loop: Header=BB12_102 Depth=1
	s_mov_b32 s10, s9
.LBB12_106:                             ;   in Loop: Header=BB12_102 Depth=1
	s_and_b64 vcc, exec, s[2:3]
	s_cbranch_vccnz .LBB12_101
; %bb.107:                              ;   in Loop: Header=BB12_102 Depth=1
	s_lshl_b32 s10, s10, 2
	s_add_i32 s10, s10, 0
	s_mov_b32 s11, s8
.LBB12_108:                             ;   Parent Loop BB12_102 Depth=1
                                        ; =>  This Inner Loop Header: Depth=2
	v_mov_b32_e32 v4, s10
	ds_read_b32 v4, v4
	s_add_i32 s10, s10, 4
	s_add_i32 s11, s11, -1
	s_cmp_lg_u32 s11, 0
	s_waitcnt lgkmcnt(0)
	v_cmp_gt_i32_e32 vcc, v2, v4
	v_addc_co_u32_e32 v1, vcc, 0, v1, vcc
	s_cbranch_scc1 .LBB12_108
	s_branch .LBB12_101
.LBB12_109:
	s_endpgm
	.section	.rodata,"a",@progbits
	.p2align	6, 0x0
	.amdhsa_kernel _ZN9rocsparseL35csrgemm_symbolic_fill_block_per_rowILj1024ELj32ELj2048ELj137ELj32EiiEEvT5_PKS1_S3_PKT4_S3_S6_S3_S6_S3_S6_PS1_21rocsparse_index_base_S8_S8_S8_bb
		.amdhsa_group_segment_fixed_size 0
		.amdhsa_private_segment_fixed_size 0
		.amdhsa_kernarg_size 108
		.amdhsa_user_sgpr_count 6
		.amdhsa_user_sgpr_private_segment_buffer 1
		.amdhsa_user_sgpr_dispatch_ptr 0
		.amdhsa_user_sgpr_queue_ptr 0
		.amdhsa_user_sgpr_kernarg_segment_ptr 1
		.amdhsa_user_sgpr_dispatch_id 0
		.amdhsa_user_sgpr_flat_scratch_init 0
		.amdhsa_user_sgpr_private_segment_size 0
		.amdhsa_uses_dynamic_stack 0
		.amdhsa_system_sgpr_private_segment_wavefront_offset 0
		.amdhsa_system_sgpr_workgroup_id_x 1
		.amdhsa_system_sgpr_workgroup_id_y 0
		.amdhsa_system_sgpr_workgroup_id_z 0
		.amdhsa_system_sgpr_workgroup_info 0
		.amdhsa_system_vgpr_workitem_id 0
		.amdhsa_next_free_vgpr 14
		.amdhsa_next_free_sgpr 78
		.amdhsa_reserve_vcc 1
		.amdhsa_reserve_flat_scratch 0
		.amdhsa_float_round_mode_32 0
		.amdhsa_float_round_mode_16_64 0
		.amdhsa_float_denorm_mode_32 3
		.amdhsa_float_denorm_mode_16_64 3
		.amdhsa_dx10_clamp 1
		.amdhsa_ieee_mode 1
		.amdhsa_fp16_overflow 0
		.amdhsa_exception_fp_ieee_invalid_op 0
		.amdhsa_exception_fp_denorm_src 0
		.amdhsa_exception_fp_ieee_div_zero 0
		.amdhsa_exception_fp_ieee_overflow 0
		.amdhsa_exception_fp_ieee_underflow 0
		.amdhsa_exception_fp_ieee_inexact 0
		.amdhsa_exception_int_div_zero 0
	.end_amdhsa_kernel
	.section	.text._ZN9rocsparseL35csrgemm_symbolic_fill_block_per_rowILj1024ELj32ELj2048ELj137ELj32EiiEEvT5_PKS1_S3_PKT4_S3_S6_S3_S6_S3_S6_PS1_21rocsparse_index_base_S8_S8_S8_bb,"axG",@progbits,_ZN9rocsparseL35csrgemm_symbolic_fill_block_per_rowILj1024ELj32ELj2048ELj137ELj32EiiEEvT5_PKS1_S3_PKT4_S3_S6_S3_S6_S3_S6_PS1_21rocsparse_index_base_S8_S8_S8_bb,comdat
.Lfunc_end12:
	.size	_ZN9rocsparseL35csrgemm_symbolic_fill_block_per_rowILj1024ELj32ELj2048ELj137ELj32EiiEEvT5_PKS1_S3_PKT4_S3_S6_S3_S6_S3_S6_PS1_21rocsparse_index_base_S8_S8_S8_bb, .Lfunc_end12-_ZN9rocsparseL35csrgemm_symbolic_fill_block_per_rowILj1024ELj32ELj2048ELj137ELj32EiiEEvT5_PKS1_S3_PKT4_S3_S6_S3_S6_S3_S6_PS1_21rocsparse_index_base_S8_S8_S8_bb
                                        ; -- End function
	.set _ZN9rocsparseL35csrgemm_symbolic_fill_block_per_rowILj1024ELj32ELj2048ELj137ELj32EiiEEvT5_PKS1_S3_PKT4_S3_S6_S3_S6_S3_S6_PS1_21rocsparse_index_base_S8_S8_S8_bb.num_vgpr, 14
	.set _ZN9rocsparseL35csrgemm_symbolic_fill_block_per_rowILj1024ELj32ELj2048ELj137ELj32EiiEEvT5_PKS1_S3_PKT4_S3_S6_S3_S6_S3_S6_PS1_21rocsparse_index_base_S8_S8_S8_bb.num_agpr, 0
	.set _ZN9rocsparseL35csrgemm_symbolic_fill_block_per_rowILj1024ELj32ELj2048ELj137ELj32EiiEEvT5_PKS1_S3_PKT4_S3_S6_S3_S6_S3_S6_PS1_21rocsparse_index_base_S8_S8_S8_bb.numbered_sgpr, 78
	.set _ZN9rocsparseL35csrgemm_symbolic_fill_block_per_rowILj1024ELj32ELj2048ELj137ELj32EiiEEvT5_PKS1_S3_PKT4_S3_S6_S3_S6_S3_S6_PS1_21rocsparse_index_base_S8_S8_S8_bb.num_named_barrier, 0
	.set _ZN9rocsparseL35csrgemm_symbolic_fill_block_per_rowILj1024ELj32ELj2048ELj137ELj32EiiEEvT5_PKS1_S3_PKT4_S3_S6_S3_S6_S3_S6_PS1_21rocsparse_index_base_S8_S8_S8_bb.private_seg_size, 0
	.set _ZN9rocsparseL35csrgemm_symbolic_fill_block_per_rowILj1024ELj32ELj2048ELj137ELj32EiiEEvT5_PKS1_S3_PKT4_S3_S6_S3_S6_S3_S6_PS1_21rocsparse_index_base_S8_S8_S8_bb.uses_vcc, 1
	.set _ZN9rocsparseL35csrgemm_symbolic_fill_block_per_rowILj1024ELj32ELj2048ELj137ELj32EiiEEvT5_PKS1_S3_PKT4_S3_S6_S3_S6_S3_S6_PS1_21rocsparse_index_base_S8_S8_S8_bb.uses_flat_scratch, 0
	.set _ZN9rocsparseL35csrgemm_symbolic_fill_block_per_rowILj1024ELj32ELj2048ELj137ELj32EiiEEvT5_PKS1_S3_PKT4_S3_S6_S3_S6_S3_S6_PS1_21rocsparse_index_base_S8_S8_S8_bb.has_dyn_sized_stack, 0
	.set _ZN9rocsparseL35csrgemm_symbolic_fill_block_per_rowILj1024ELj32ELj2048ELj137ELj32EiiEEvT5_PKS1_S3_PKT4_S3_S6_S3_S6_S3_S6_PS1_21rocsparse_index_base_S8_S8_S8_bb.has_recursion, 0
	.set _ZN9rocsparseL35csrgemm_symbolic_fill_block_per_rowILj1024ELj32ELj2048ELj137ELj32EiiEEvT5_PKS1_S3_PKT4_S3_S6_S3_S6_S3_S6_PS1_21rocsparse_index_base_S8_S8_S8_bb.has_indirect_call, 0
	.section	.AMDGPU.csdata,"",@progbits
; Kernel info:
; codeLenInByte = 3292
; TotalNumSgprs: 82
; NumVgprs: 14
; ScratchSize: 0
; MemoryBound: 0
; FloatMode: 240
; IeeeMode: 1
; LDSByteSize: 0 bytes/workgroup (compile time only)
; SGPRBlocks: 10
; VGPRBlocks: 3
; NumSGPRsForWavesPerEU: 82
; NumVGPRsForWavesPerEU: 14
; Occupancy: 9
; WaveLimiterHint : 1
; COMPUTE_PGM_RSRC2:SCRATCH_EN: 0
; COMPUTE_PGM_RSRC2:USER_SGPR: 6
; COMPUTE_PGM_RSRC2:TRAP_HANDLER: 0
; COMPUTE_PGM_RSRC2:TGID_X_EN: 1
; COMPUTE_PGM_RSRC2:TGID_Y_EN: 0
; COMPUTE_PGM_RSRC2:TGID_Z_EN: 0
; COMPUTE_PGM_RSRC2:TIDIG_COMP_CNT: 0
	.section	.text._ZN9rocsparseL35csrgemm_symbolic_fill_block_per_rowILj1024ELj32ELj2048ELj137ELj64EiiEEvT5_PKS1_S3_PKT4_S3_S6_S3_S6_S3_S6_PS1_21rocsparse_index_base_S8_S8_S8_bb,"axG",@progbits,_ZN9rocsparseL35csrgemm_symbolic_fill_block_per_rowILj1024ELj32ELj2048ELj137ELj64EiiEEvT5_PKS1_S3_PKT4_S3_S6_S3_S6_S3_S6_PS1_21rocsparse_index_base_S8_S8_S8_bb,comdat
	.globl	_ZN9rocsparseL35csrgemm_symbolic_fill_block_per_rowILj1024ELj32ELj2048ELj137ELj64EiiEEvT5_PKS1_S3_PKT4_S3_S6_S3_S6_S3_S6_PS1_21rocsparse_index_base_S8_S8_S8_bb ; -- Begin function _ZN9rocsparseL35csrgemm_symbolic_fill_block_per_rowILj1024ELj32ELj2048ELj137ELj64EiiEEvT5_PKS1_S3_PKT4_S3_S6_S3_S6_S3_S6_PS1_21rocsparse_index_base_S8_S8_S8_bb
	.p2align	8
	.type	_ZN9rocsparseL35csrgemm_symbolic_fill_block_per_rowILj1024ELj32ELj2048ELj137ELj64EiiEEvT5_PKS1_S3_PKT4_S3_S6_S3_S6_S3_S6_PS1_21rocsparse_index_base_S8_S8_S8_bb,@function
_ZN9rocsparseL35csrgemm_symbolic_fill_block_per_rowILj1024ELj32ELj2048ELj137ELj64EiiEEvT5_PKS1_S3_PKT4_S3_S6_S3_S6_S3_S6_PS1_21rocsparse_index_base_S8_S8_S8_bb: ; @_ZN9rocsparseL35csrgemm_symbolic_fill_block_per_rowILj1024ELj32ELj2048ELj137ELj64EiiEEvT5_PKS1_S3_PKT4_S3_S6_S3_S6_S3_S6_PS1_21rocsparse_index_base_S8_S8_S8_bb
; %bb.0:
	s_load_dwordx4 s[36:39], s[4:5], 0x48
	s_load_dwordx8 s[8:15], s[4:5], 0x28
	s_load_dword s33, s[4:5], 0x0
	s_load_dwordx8 s[16:23], s[4:5], 0x8
	v_or_b32_e32 v4, 0xfffffc00, v0
	v_lshl_add_u32 v5, v0, 2, 0
	s_mov_b64 s[0:1], 0
	s_waitcnt lgkmcnt(0)
	v_mov_b32_e32 v1, s33
	v_mov_b32_e32 v2, v5
	;; [unrolled: 1-line block ×3, first 2 shown]
.LBB13_1:                               ; =>This Inner Loop Header: Depth=1
	v_add_co_u32_e32 v3, vcc, 0x400, v3
	s_xor_b64 s[2:3], vcc, -1
	s_and_b64 s[2:3], exec, s[2:3]
	ds_write_b32 v2, v1
	s_or_b64 s[0:1], s[2:3], s[0:1]
	v_add_u32_e32 v2, 0x1000, v2
	s_andn2_b64 exec, exec, s[0:1]
	s_cbranch_execnz .LBB13_1
; %bb.2:
	s_or_b64 exec, exec, s[0:1]
	s_load_dword s28, s[4:5], 0x68
	s_waitcnt lgkmcnt(0)
	s_barrier
	s_load_dword s2, s[16:17], 0x0
	s_load_dwordx4 s[40:43], s[4:5], 0x58
	s_bitcmp1_b32 s28, 0
	s_cselect_b64 s[0:1], -1, 0
	s_mov_b32 s3, 0
	s_waitcnt lgkmcnt(0)
	s_add_i32 s2, s2, s6
	s_lshl_b64 s[2:3], s[2:3], 2
	s_add_u32 s2, s18, s2
	s_addc_u32 s3, s19, s3
	s_load_dword s34, s[2:3], 0x0
	s_and_b64 vcc, exec, s[0:1]
	s_cbranch_vccz .LBB13_18
; %bb.3:
	s_waitcnt lgkmcnt(0)
	s_ashr_i32 s35, s34, 31
	s_lshl_b64 s[0:1], s[34:35], 2
	s_add_u32 s0, s20, s0
	s_addc_u32 s1, s21, s1
	s_load_dwordx2 s[2:3], s[0:1], 0x0
	v_lshrrev_b32_e32 v1, 5, v0
	v_subrev_u32_e32 v1, s40, v1
	s_waitcnt lgkmcnt(0)
	s_sub_i32 s29, s3, s40
	v_add_u32_e32 v1, s2, v1
	v_cmp_gt_i32_e32 vcc, s29, v1
	s_and_saveexec_b64 s[0:1], vcc
	s_cbranch_execz .LBB13_17
; %bb.4:
	v_and_b32_e32 v2, 31, v0
	v_subrev_u32_e32 v6, s41, v2
	s_mov_b64 s[2:3], 0
	v_mov_b32_e32 v7, s23
	v_mov_b32_e32 v8, s9
	s_movk_i32 s9, 0x89
	s_branch .LBB13_6
.LBB13_5:                               ;   in Loop: Header=BB13_6 Depth=1
	s_or_b64 exec, exec, s[4:5]
	v_add_u32_e32 v1, 32, v1
	v_cmp_le_i32_e32 vcc, s29, v1
	s_or_b64 s[2:3], vcc, s[2:3]
	s_andn2_b64 exec, exec, s[2:3]
	s_cbranch_execz .LBB13_17
.LBB13_6:                               ; =>This Loop Header: Depth=1
                                        ;     Child Loop BB13_9 Depth 2
                                        ;       Child Loop BB13_12 Depth 3
	v_ashrrev_i32_e32 v2, 31, v1
	v_lshlrev_b64 v[2:3], 2, v[1:2]
	v_add_co_u32_e32 v2, vcc, s22, v2
	v_addc_co_u32_e32 v3, vcc, v7, v3, vcc
	global_load_dword v2, v[2:3], off
	s_waitcnt vmcnt(0)
	v_subrev_u32_e32 v2, s40, v2
	v_ashrrev_i32_e32 v3, 31, v2
	v_lshlrev_b64 v[2:3], 2, v[2:3]
	v_add_co_u32_e32 v2, vcc, s8, v2
	v_addc_co_u32_e32 v3, vcc, v8, v3, vcc
	global_load_dwordx2 v[2:3], v[2:3], off
	s_waitcnt vmcnt(0)
	v_subrev_u32_e32 v9, s41, v3
	v_add_u32_e32 v2, v2, v6
	v_cmp_lt_i32_e32 vcc, v2, v9
	s_and_saveexec_b64 s[4:5], vcc
	s_cbranch_execz .LBB13_5
; %bb.7:                                ;   in Loop: Header=BB13_6 Depth=1
	s_mov_b64 s[6:7], 0
	s_branch .LBB13_9
.LBB13_8:                               ;   in Loop: Header=BB13_9 Depth=2
	s_or_b64 exec, exec, s[16:17]
	v_add_u32_e32 v2, 32, v2
	v_cmp_ge_i32_e32 vcc, v2, v9
	s_or_b64 s[6:7], vcc, s[6:7]
	s_andn2_b64 exec, exec, s[6:7]
	s_cbranch_execz .LBB13_5
.LBB13_9:                               ;   Parent Loop BB13_6 Depth=1
                                        ; =>  This Loop Header: Depth=2
                                        ;       Child Loop BB13_12 Depth 3
	v_ashrrev_i32_e32 v3, 31, v2
	v_lshlrev_b64 v[10:11], 2, v[2:3]
	v_mov_b32_e32 v3, s11
	v_add_co_u32_e32 v10, vcc, s10, v10
	v_addc_co_u32_e32 v11, vcc, v3, v11, vcc
	global_load_dword v3, v[10:11], off
	s_mov_b64 s[16:17], 0
                                        ; implicit-def: $sgpr18_sgpr19
	s_waitcnt vmcnt(0)
	v_subrev_u32_e32 v3, s41, v3
	v_mul_lo_u32 v10, v3, s9
	v_and_b32_e32 v10, 0x7ff, v10
	s_branch .LBB13_12
.LBB13_10:                              ;   in Loop: Header=BB13_12 Depth=3
	s_or_b64 exec, exec, s[24:25]
	s_andn2_b64 s[18:19], s[18:19], exec
	s_and_b64 s[24:25], s[26:27], exec
	s_or_b64 s[18:19], s[18:19], s[24:25]
.LBB13_11:                              ;   in Loop: Header=BB13_12 Depth=3
	s_or_b64 exec, exec, s[20:21]
	s_xor_b64 s[20:21], s[18:19], -1
	s_and_b64 s[20:21], exec, s[20:21]
	s_or_b64 s[16:17], s[20:21], s[16:17]
	s_andn2_b64 exec, exec, s[16:17]
	s_cbranch_execz .LBB13_8
.LBB13_12:                              ;   Parent Loop BB13_6 Depth=1
                                        ;     Parent Loop BB13_9 Depth=2
                                        ; =>    This Inner Loop Header: Depth=3
	v_lshl_add_u32 v11, v10, 2, 0
	ds_read_b32 v12, v11
	s_andn2_b64 s[18:19], s[18:19], exec
	s_waitcnt lgkmcnt(0)
	v_cmp_ne_u32_e32 vcc, v12, v3
	s_and_saveexec_b64 s[20:21], vcc
	s_cbranch_execz .LBB13_11
; %bb.13:                               ;   in Loop: Header=BB13_12 Depth=3
	v_cmp_ne_u32_e32 vcc, s33, v12
	s_and_saveexec_b64 s[24:25], vcc
	s_xor_b64 s[24:25], exec, s[24:25]
; %bb.14:                               ;   in Loop: Header=BB13_12 Depth=3
	v_add_u32_e32 v10, 1, v10
	v_and_b32_e32 v10, 0x7ff, v10
                                        ; implicit-def: $vgpr11
; %bb.15:                               ;   in Loop: Header=BB13_12 Depth=3
	s_or_saveexec_b64 s[24:25], s[24:25]
	s_mov_b64 s[26:27], -1
	s_xor_b64 exec, exec, s[24:25]
	s_cbranch_execz .LBB13_10
; %bb.16:                               ;   in Loop: Header=BB13_12 Depth=3
	v_mov_b32_e32 v12, s33
	ds_cmpst_rtn_b32 v11, v11, v12, v3
	s_waitcnt lgkmcnt(0)
	v_cmp_ne_u32_e32 vcc, s33, v11
	s_orn2_b64 s[26:27], vcc, exec
	s_branch .LBB13_10
.LBB13_17:
	s_or_b64 exec, exec, s[0:1]
.LBB13_18:
	s_bfe_u32 s0, s28, 0x10008
	s_cmp_eq_u32 s0, 0
	s_cbranch_scc1 .LBB13_31
; %bb.19:
	s_waitcnt lgkmcnt(0)
	s_ashr_i32 s35, s34, 31
	s_lshl_b64 s[0:1], s[34:35], 2
	s_add_u32 s0, s12, s0
	s_addc_u32 s1, s13, s1
	s_load_dwordx2 s[2:3], s[0:1], 0x0
	v_subrev_u32_e32 v1, s43, v0
	s_waitcnt lgkmcnt(0)
	s_sub_i32 s16, s3, s43
	v_add_u32_e32 v1, s2, v1
	v_cmp_gt_i32_e32 vcc, s16, v1
	s_and_saveexec_b64 s[0:1], vcc
	s_cbranch_execz .LBB13_30
; %bb.20:
	s_mov_b64 s[2:3], 0
	v_mov_b32_e32 v3, s15
	s_movk_i32 s15, 0x89
	s_branch .LBB13_22
.LBB13_21:                              ;   in Loop: Header=BB13_22 Depth=1
	s_or_b64 exec, exec, s[4:5]
	v_add_u32_e32 v1, 0x400, v1
	v_cmp_le_i32_e32 vcc, s16, v1
	s_or_b64 s[2:3], vcc, s[2:3]
	s_andn2_b64 exec, exec, s[2:3]
	s_cbranch_execz .LBB13_30
.LBB13_22:                              ; =>This Loop Header: Depth=1
                                        ;     Child Loop BB13_25 Depth 2
	v_ashrrev_i32_e32 v2, 31, v1
	v_lshlrev_b64 v[6:7], 2, v[1:2]
	s_mov_b64 s[4:5], 0
	v_add_co_u32_e32 v6, vcc, s14, v6
	v_addc_co_u32_e32 v7, vcc, v3, v7, vcc
	global_load_dword v2, v[6:7], off
                                        ; implicit-def: $sgpr6_sgpr7
	s_waitcnt vmcnt(0)
	v_subrev_u32_e32 v2, s43, v2
	v_mul_lo_u32 v6, v2, s15
	v_and_b32_e32 v6, 0x7ff, v6
	s_branch .LBB13_25
.LBB13_23:                              ;   in Loop: Header=BB13_25 Depth=2
	s_or_b64 exec, exec, s[10:11]
	s_andn2_b64 s[6:7], s[6:7], exec
	s_and_b64 s[10:11], s[12:13], exec
	s_or_b64 s[6:7], s[6:7], s[10:11]
.LBB13_24:                              ;   in Loop: Header=BB13_25 Depth=2
	s_or_b64 exec, exec, s[8:9]
	s_xor_b64 s[8:9], s[6:7], -1
	s_and_b64 s[8:9], exec, s[8:9]
	s_or_b64 s[4:5], s[8:9], s[4:5]
	s_andn2_b64 exec, exec, s[4:5]
	s_cbranch_execz .LBB13_21
.LBB13_25:                              ;   Parent Loop BB13_22 Depth=1
                                        ; =>  This Inner Loop Header: Depth=2
	v_lshl_add_u32 v7, v6, 2, 0
	ds_read_b32 v8, v7
	s_andn2_b64 s[6:7], s[6:7], exec
	s_waitcnt lgkmcnt(0)
	v_cmp_ne_u32_e32 vcc, v8, v2
	s_and_saveexec_b64 s[8:9], vcc
	s_cbranch_execz .LBB13_24
; %bb.26:                               ;   in Loop: Header=BB13_25 Depth=2
	v_cmp_ne_u32_e32 vcc, s33, v8
	s_and_saveexec_b64 s[10:11], vcc
	s_xor_b64 s[10:11], exec, s[10:11]
; %bb.27:                               ;   in Loop: Header=BB13_25 Depth=2
	v_add_u32_e32 v6, 1, v6
	v_and_b32_e32 v6, 0x7ff, v6
                                        ; implicit-def: $vgpr7
; %bb.28:                               ;   in Loop: Header=BB13_25 Depth=2
	s_or_saveexec_b64 s[10:11], s[10:11]
	s_mov_b64 s[12:13], -1
	s_xor_b64 exec, exec, s[10:11]
	s_cbranch_execz .LBB13_23
; %bb.29:                               ;   in Loop: Header=BB13_25 Depth=2
	v_mov_b32_e32 v8, s33
	ds_cmpst_rtn_b32 v7, v7, v8, v2
	s_waitcnt lgkmcnt(0)
	v_cmp_ne_u32_e32 vcc, s33, v7
	s_orn2_b64 s[12:13], vcc, exec
	s_branch .LBB13_23
.LBB13_30:
	s_or_b64 exec, exec, s[0:1]
.LBB13_31:
	v_mbcnt_lo_u32_b32 v1, -1, 0
	v_mbcnt_hi_u32_b32 v1, -1, v1
	v_sub_u32_e32 v1, 63, v1
	v_lshrrev_b32_e32 v6, 4, v0
	v_lshrrev_b64 v[1:2], v1, -1
	v_and_b32_e32 v6, 60, v6
	s_movk_i32 s0, 0x3ff
	s_movk_i32 s4, 0x7f
	;; [unrolled: 1-line block ×15, first 2 shown]
	v_mov_b32_e32 v3, 0
	v_add_u32_e32 v6, 0, v6
	v_cmp_eq_u32_e64 s[0:1], s0, v0
	v_cmp_lt_u32_e64 s[2:3], 63, v0
	v_cmp_lt_u32_e64 s[4:5], s4, v0
	;; [unrolled: 1-line block ×15, first 2 shown]
	s_mov_b64 s[40:41], 0
	v_mov_b32_e32 v7, 0
	s_waitcnt lgkmcnt(0)
	s_barrier
	s_branch .LBB13_33
.LBB13_32:                              ;   in Loop: Header=BB13_33 Depth=1
	s_or_b64 exec, exec, s[44:45]
	s_waitcnt lgkmcnt(0)
	s_barrier
	ds_read_b32 v8, v3 offset:8252
	v_add_co_u32_e32 v4, vcc, 0x400, v4
	s_xor_b64 s[44:45], vcc, -1
	s_and_b64 s[44:45], exec, s[44:45]
	s_waitcnt lgkmcnt(0)
	v_add_u32_e32 v7, v8, v7
	s_or_b64 s[40:41], s[44:45], s[40:41]
	v_add_u32_e32 v5, 0x1000, v5
	s_andn2_b64 exec, exec, s[40:41]
	s_cbranch_execz .LBB13_67
.LBB13_33:                              ; =>This Inner Loop Header: Depth=1
	ds_read_b32 v8, v5
	s_waitcnt lgkmcnt(0)
	s_barrier
	v_cmp_gt_i32_e32 vcc, s33, v8
	v_and_b32_e32 v10, vcc_lo, v1
	s_bcnt1_i32_b64 s35, vcc
	v_and_b32_e32 v9, vcc_hi, v2
	v_bcnt_u32_b32 v10, v10, 0
	v_bcnt_u32_b32 v9, v9, v10
	v_mov_b32_e32 v10, s35
	ds_write_b32 v6, v10 offset:8192
	s_waitcnt lgkmcnt(0)
	s_barrier
	s_and_saveexec_b64 s[44:45], s[2:3]
	s_cbranch_execnz .LBB13_50
; %bb.34:                               ;   in Loop: Header=BB13_33 Depth=1
	s_or_b64 exec, exec, s[44:45]
	s_and_saveexec_b64 s[44:45], s[4:5]
	s_cbranch_execnz .LBB13_51
.LBB13_35:                              ;   in Loop: Header=BB13_33 Depth=1
	s_or_b64 exec, exec, s[44:45]
	s_and_saveexec_b64 s[44:45], s[6:7]
	s_cbranch_execnz .LBB13_52
.LBB13_36:                              ;   in Loop: Header=BB13_33 Depth=1
	s_or_b64 exec, exec, s[44:45]
	s_and_saveexec_b64 s[44:45], s[8:9]
	s_cbranch_execnz .LBB13_53
.LBB13_37:                              ;   in Loop: Header=BB13_33 Depth=1
	s_or_b64 exec, exec, s[44:45]
	s_and_saveexec_b64 s[44:45], s[10:11]
	s_cbranch_execnz .LBB13_54
.LBB13_38:                              ;   in Loop: Header=BB13_33 Depth=1
	s_or_b64 exec, exec, s[44:45]
	s_and_saveexec_b64 s[44:45], s[12:13]
	s_cbranch_execnz .LBB13_55
.LBB13_39:                              ;   in Loop: Header=BB13_33 Depth=1
	s_or_b64 exec, exec, s[44:45]
	s_and_saveexec_b64 s[44:45], s[14:15]
	s_cbranch_execnz .LBB13_56
.LBB13_40:                              ;   in Loop: Header=BB13_33 Depth=1
	s_or_b64 exec, exec, s[44:45]
	s_and_saveexec_b64 s[44:45], s[16:17]
	s_cbranch_execnz .LBB13_57
.LBB13_41:                              ;   in Loop: Header=BB13_33 Depth=1
	s_or_b64 exec, exec, s[44:45]
	s_and_saveexec_b64 s[44:45], s[18:19]
	s_cbranch_execnz .LBB13_58
.LBB13_42:                              ;   in Loop: Header=BB13_33 Depth=1
	s_or_b64 exec, exec, s[44:45]
	s_and_saveexec_b64 s[44:45], s[20:21]
	s_cbranch_execnz .LBB13_59
.LBB13_43:                              ;   in Loop: Header=BB13_33 Depth=1
	s_or_b64 exec, exec, s[44:45]
	s_and_saveexec_b64 s[44:45], s[22:23]
	s_cbranch_execnz .LBB13_60
.LBB13_44:                              ;   in Loop: Header=BB13_33 Depth=1
	s_or_b64 exec, exec, s[44:45]
	s_and_saveexec_b64 s[44:45], s[24:25]
	s_cbranch_execnz .LBB13_61
.LBB13_45:                              ;   in Loop: Header=BB13_33 Depth=1
	s_or_b64 exec, exec, s[44:45]
	s_and_saveexec_b64 s[44:45], s[26:27]
	s_cbranch_execnz .LBB13_62
.LBB13_46:                              ;   in Loop: Header=BB13_33 Depth=1
	s_or_b64 exec, exec, s[44:45]
	s_and_saveexec_b64 s[44:45], s[28:29]
	s_cbranch_execnz .LBB13_63
.LBB13_47:                              ;   in Loop: Header=BB13_33 Depth=1
	s_or_b64 exec, exec, s[44:45]
	s_and_saveexec_b64 s[44:45], s[30:31]
	s_cbranch_execnz .LBB13_64
.LBB13_48:                              ;   in Loop: Header=BB13_33 Depth=1
	s_or_b64 exec, exec, s[44:45]
	s_and_saveexec_b64 s[44:45], vcc
	s_cbranch_execnz .LBB13_65
.LBB13_49:                              ;   in Loop: Header=BB13_33 Depth=1
	s_or_b64 exec, exec, s[44:45]
	s_and_saveexec_b64 s[44:45], s[0:1]
	s_cbranch_execz .LBB13_32
	s_branch .LBB13_66
.LBB13_50:                              ;   in Loop: Header=BB13_33 Depth=1
	ds_read_b32 v10, v3 offset:8192
	s_waitcnt lgkmcnt(0)
	v_add_u32_e32 v9, v10, v9
	s_or_b64 exec, exec, s[44:45]
	s_and_saveexec_b64 s[44:45], s[4:5]
	s_cbranch_execz .LBB13_35
.LBB13_51:                              ;   in Loop: Header=BB13_33 Depth=1
	ds_read_b32 v10, v3 offset:8196
	s_waitcnt lgkmcnt(0)
	v_add_u32_e32 v9, v10, v9
	s_or_b64 exec, exec, s[44:45]
	s_and_saveexec_b64 s[44:45], s[6:7]
	s_cbranch_execz .LBB13_36
.LBB13_52:                              ;   in Loop: Header=BB13_33 Depth=1
	ds_read_b32 v10, v3 offset:8200
	s_waitcnt lgkmcnt(0)
	v_add_u32_e32 v9, v10, v9
	s_or_b64 exec, exec, s[44:45]
	s_and_saveexec_b64 s[44:45], s[8:9]
	s_cbranch_execz .LBB13_37
.LBB13_53:                              ;   in Loop: Header=BB13_33 Depth=1
	ds_read_b32 v10, v3 offset:8204
	s_waitcnt lgkmcnt(0)
	v_add_u32_e32 v9, v10, v9
	s_or_b64 exec, exec, s[44:45]
	s_and_saveexec_b64 s[44:45], s[10:11]
	s_cbranch_execz .LBB13_38
.LBB13_54:                              ;   in Loop: Header=BB13_33 Depth=1
	ds_read_b32 v10, v3 offset:8208
	s_waitcnt lgkmcnt(0)
	v_add_u32_e32 v9, v10, v9
	s_or_b64 exec, exec, s[44:45]
	s_and_saveexec_b64 s[44:45], s[12:13]
	s_cbranch_execz .LBB13_39
.LBB13_55:                              ;   in Loop: Header=BB13_33 Depth=1
	ds_read_b32 v10, v3 offset:8212
	s_waitcnt lgkmcnt(0)
	v_add_u32_e32 v9, v10, v9
	s_or_b64 exec, exec, s[44:45]
	s_and_saveexec_b64 s[44:45], s[14:15]
	s_cbranch_execz .LBB13_40
.LBB13_56:                              ;   in Loop: Header=BB13_33 Depth=1
	ds_read_b32 v10, v3 offset:8216
	s_waitcnt lgkmcnt(0)
	v_add_u32_e32 v9, v10, v9
	s_or_b64 exec, exec, s[44:45]
	s_and_saveexec_b64 s[44:45], s[16:17]
	s_cbranch_execz .LBB13_41
.LBB13_57:                              ;   in Loop: Header=BB13_33 Depth=1
	ds_read_b32 v10, v3 offset:8220
	s_waitcnt lgkmcnt(0)
	v_add_u32_e32 v9, v10, v9
	s_or_b64 exec, exec, s[44:45]
	s_and_saveexec_b64 s[44:45], s[18:19]
	s_cbranch_execz .LBB13_42
.LBB13_58:                              ;   in Loop: Header=BB13_33 Depth=1
	ds_read_b32 v10, v3 offset:8224
	s_waitcnt lgkmcnt(0)
	v_add_u32_e32 v9, v10, v9
	s_or_b64 exec, exec, s[44:45]
	s_and_saveexec_b64 s[44:45], s[20:21]
	s_cbranch_execz .LBB13_43
.LBB13_59:                              ;   in Loop: Header=BB13_33 Depth=1
	ds_read_b32 v10, v3 offset:8228
	s_waitcnt lgkmcnt(0)
	v_add_u32_e32 v9, v10, v9
	s_or_b64 exec, exec, s[44:45]
	s_and_saveexec_b64 s[44:45], s[22:23]
	s_cbranch_execz .LBB13_44
.LBB13_60:                              ;   in Loop: Header=BB13_33 Depth=1
	ds_read_b32 v10, v3 offset:8232
	s_waitcnt lgkmcnt(0)
	v_add_u32_e32 v9, v10, v9
	s_or_b64 exec, exec, s[44:45]
	s_and_saveexec_b64 s[44:45], s[24:25]
	s_cbranch_execz .LBB13_45
.LBB13_61:                              ;   in Loop: Header=BB13_33 Depth=1
	ds_read_b32 v10, v3 offset:8236
	s_waitcnt lgkmcnt(0)
	v_add_u32_e32 v9, v10, v9
	s_or_b64 exec, exec, s[44:45]
	s_and_saveexec_b64 s[44:45], s[26:27]
	s_cbranch_execz .LBB13_46
.LBB13_62:                              ;   in Loop: Header=BB13_33 Depth=1
	ds_read_b32 v10, v3 offset:8240
	s_waitcnt lgkmcnt(0)
	v_add_u32_e32 v9, v10, v9
	s_or_b64 exec, exec, s[44:45]
	s_and_saveexec_b64 s[44:45], s[28:29]
	s_cbranch_execz .LBB13_47
.LBB13_63:                              ;   in Loop: Header=BB13_33 Depth=1
	ds_read_b32 v10, v3 offset:8244
	s_waitcnt lgkmcnt(0)
	v_add_u32_e32 v9, v10, v9
	s_or_b64 exec, exec, s[44:45]
	s_and_saveexec_b64 s[44:45], s[30:31]
	s_cbranch_execz .LBB13_48
.LBB13_64:                              ;   in Loop: Header=BB13_33 Depth=1
	ds_read_b32 v10, v3 offset:8248
	s_waitcnt lgkmcnt(0)
	v_add_u32_e32 v9, v10, v9
	s_or_b64 exec, exec, s[44:45]
	s_and_saveexec_b64 s[44:45], vcc
	s_cbranch_execz .LBB13_49
.LBB13_65:                              ;   in Loop: Header=BB13_33 Depth=1
	v_lshlrev_b32_e32 v10, 2, v7
	v_add_u32_e32 v10, 0, v10
	v_lshlrev_b32_e32 v11, 2, v9
	v_add3_u32 v10, v10, v11, -4
	ds_write_b32 v10, v8
	s_or_b64 exec, exec, s[44:45]
	s_and_saveexec_b64 s[44:45], s[0:1]
	s_cbranch_execz .LBB13_32
.LBB13_66:                              ;   in Loop: Header=BB13_33 Depth=1
	ds_write_b32 v3, v9 offset:8252
	s_branch .LBB13_32
.LBB13_67:
	s_or_b64 exec, exec, s[40:41]
	s_ashr_i32 s35, s34, 31
	s_lshl_b64 s[0:1], s[34:35], 2
	s_add_u32 s2, s36, s0
	s_addc_u32 s3, s37, s1
	s_load_dwordx2 s[0:1], s[2:3], 0x0
	s_waitcnt lgkmcnt(0)
	s_sub_i32 s6, s1, s0
	v_cmp_gt_i32_e32 vcc, s6, v0
	s_and_saveexec_b64 s[2:3], vcc
	s_cbranch_execz .LBB13_77
; %bb.68:
	s_sub_i32 s7, s0, s42
	s_and_b32 s8, s6, 7
	s_sub_i32 s0, s0, s1
	s_cmp_lt_u32 s0, -7
	s_cselect_b64 s[0:1], -1, 0
	s_and_b32 s9, s6, -8
	s_cmp_lg_u32 s8, 0
	v_cndmask_b32_e64 v1, 0, 1, s[0:1]
	s_cselect_b64 s[2:3], -1, 0
	v_cmp_ne_u32_e64 s[0:1], 1, v1
	v_cndmask_b32_e64 v1, 0, 1, s[2:3]
	s_mov_b64 s[4:5], 0
	v_cmp_ne_u32_e64 s[2:3], 1, v1
	v_mov_b32_e32 v3, s39
	s_branch .LBB13_70
.LBB13_69:                              ;   in Loop: Header=BB13_70 Depth=1
	s_waitcnt lgkmcnt(0)
	v_add_u32_e32 v4, s42, v2
	v_ashrrev_i32_e32 v2, 31, v1
	v_lshlrev_b64 v[1:2], 2, v[1:2]
	v_add_u32_e32 v0, 0x400, v0
	v_add_co_u32_e32 v1, vcc, s38, v1
	v_addc_co_u32_e32 v2, vcc, v3, v2, vcc
	v_cmp_le_i32_e32 vcc, s6, v0
	s_or_b64 s[4:5], vcc, s[4:5]
	global_store_dword v[1:2], v4, off
	s_andn2_b64 exec, exec, s[4:5]
	s_cbranch_execz .LBB13_77
.LBB13_70:                              ; =>This Loop Header: Depth=1
                                        ;     Child Loop BB13_72 Depth 2
                                        ;     Child Loop BB13_76 Depth 2
	v_lshl_add_u32 v1, v0, 2, 0
	ds_read_b32 v2, v1
	s_and_b64 vcc, exec, s[0:1]
	v_mov_b32_e32 v1, s7
	s_mov_b32 s10, 0
	s_cbranch_vccnz .LBB13_74
; %bb.71:                               ;   in Loop: Header=BB13_70 Depth=1
	s_mov_b32 s11, 0
	v_mov_b32_e32 v1, s7
.LBB13_72:                              ;   Parent Loop BB13_70 Depth=1
                                        ; =>  This Inner Loop Header: Depth=2
	v_mov_b32_e32 v10, s11
	ds_read2_b32 v[4:5], v10 offset1:1
	ds_read2_b32 v[6:7], v10 offset0:2 offset1:3
	ds_read2_b32 v[8:9], v10 offset0:4 offset1:5
	;; [unrolled: 1-line block ×3, first 2 shown]
	s_add_i32 s10, s10, 8
	s_waitcnt lgkmcnt(3)
	v_cmp_gt_i32_e32 vcc, v2, v4
	v_cndmask_b32_e64 v4, 0, 1, vcc
	s_waitcnt lgkmcnt(2)
	v_cmp_gt_i32_e32 vcc, v2, v6
	v_cndmask_b32_e64 v6, 0, 1, vcc
	;; [unrolled: 3-line block ×4, first 2 shown]
	v_cmp_gt_i32_e32 vcc, v2, v5
	v_addc_co_u32_e32 v1, vcc, v1, v4, vcc
	v_cmp_gt_i32_e32 vcc, v2, v7
	v_addc_co_u32_e32 v1, vcc, v1, v6, vcc
	;; [unrolled: 2-line block ×3, first 2 shown]
	s_add_i32 s11, s11, 32
	v_cmp_gt_i32_e32 vcc, v2, v11
	s_cmp_eq_u32 s9, s10
	v_addc_co_u32_e32 v1, vcc, v1, v10, vcc
	s_cbranch_scc0 .LBB13_72
; %bb.73:                               ;   in Loop: Header=BB13_70 Depth=1
	s_mov_b32 s10, s9
.LBB13_74:                              ;   in Loop: Header=BB13_70 Depth=1
	s_and_b64 vcc, exec, s[2:3]
	s_cbranch_vccnz .LBB13_69
; %bb.75:                               ;   in Loop: Header=BB13_70 Depth=1
	s_lshl_b32 s10, s10, 2
	s_add_i32 s10, s10, 0
	s_mov_b32 s11, s8
.LBB13_76:                              ;   Parent Loop BB13_70 Depth=1
                                        ; =>  This Inner Loop Header: Depth=2
	v_mov_b32_e32 v4, s10
	ds_read_b32 v4, v4
	s_add_i32 s10, s10, 4
	s_add_i32 s11, s11, -1
	s_cmp_lg_u32 s11, 0
	s_waitcnt lgkmcnt(0)
	v_cmp_gt_i32_e32 vcc, v2, v4
	v_addc_co_u32_e32 v1, vcc, 0, v1, vcc
	s_cbranch_scc1 .LBB13_76
	s_branch .LBB13_69
.LBB13_77:
	s_endpgm
	.section	.rodata,"a",@progbits
	.p2align	6, 0x0
	.amdhsa_kernel _ZN9rocsparseL35csrgemm_symbolic_fill_block_per_rowILj1024ELj32ELj2048ELj137ELj64EiiEEvT5_PKS1_S3_PKT4_S3_S6_S3_S6_S3_S6_PS1_21rocsparse_index_base_S8_S8_S8_bb
		.amdhsa_group_segment_fixed_size 0
		.amdhsa_private_segment_fixed_size 0
		.amdhsa_kernarg_size 108
		.amdhsa_user_sgpr_count 6
		.amdhsa_user_sgpr_private_segment_buffer 1
		.amdhsa_user_sgpr_dispatch_ptr 0
		.amdhsa_user_sgpr_queue_ptr 0
		.amdhsa_user_sgpr_kernarg_segment_ptr 1
		.amdhsa_user_sgpr_dispatch_id 0
		.amdhsa_user_sgpr_flat_scratch_init 0
		.amdhsa_user_sgpr_private_segment_size 0
		.amdhsa_uses_dynamic_stack 0
		.amdhsa_system_sgpr_private_segment_wavefront_offset 0
		.amdhsa_system_sgpr_workgroup_id_x 1
		.amdhsa_system_sgpr_workgroup_id_y 0
		.amdhsa_system_sgpr_workgroup_id_z 0
		.amdhsa_system_sgpr_workgroup_info 0
		.amdhsa_system_vgpr_workitem_id 0
		.amdhsa_next_free_vgpr 13
		.amdhsa_next_free_sgpr 46
		.amdhsa_reserve_vcc 1
		.amdhsa_reserve_flat_scratch 0
		.amdhsa_float_round_mode_32 0
		.amdhsa_float_round_mode_16_64 0
		.amdhsa_float_denorm_mode_32 3
		.amdhsa_float_denorm_mode_16_64 3
		.amdhsa_dx10_clamp 1
		.amdhsa_ieee_mode 1
		.amdhsa_fp16_overflow 0
		.amdhsa_exception_fp_ieee_invalid_op 0
		.amdhsa_exception_fp_denorm_src 0
		.amdhsa_exception_fp_ieee_div_zero 0
		.amdhsa_exception_fp_ieee_overflow 0
		.amdhsa_exception_fp_ieee_underflow 0
		.amdhsa_exception_fp_ieee_inexact 0
		.amdhsa_exception_int_div_zero 0
	.end_amdhsa_kernel
	.section	.text._ZN9rocsparseL35csrgemm_symbolic_fill_block_per_rowILj1024ELj32ELj2048ELj137ELj64EiiEEvT5_PKS1_S3_PKT4_S3_S6_S3_S6_S3_S6_PS1_21rocsparse_index_base_S8_S8_S8_bb,"axG",@progbits,_ZN9rocsparseL35csrgemm_symbolic_fill_block_per_rowILj1024ELj32ELj2048ELj137ELj64EiiEEvT5_PKS1_S3_PKT4_S3_S6_S3_S6_S3_S6_PS1_21rocsparse_index_base_S8_S8_S8_bb,comdat
.Lfunc_end13:
	.size	_ZN9rocsparseL35csrgemm_symbolic_fill_block_per_rowILj1024ELj32ELj2048ELj137ELj64EiiEEvT5_PKS1_S3_PKT4_S3_S6_S3_S6_S3_S6_PS1_21rocsparse_index_base_S8_S8_S8_bb, .Lfunc_end13-_ZN9rocsparseL35csrgemm_symbolic_fill_block_per_rowILj1024ELj32ELj2048ELj137ELj64EiiEEvT5_PKS1_S3_PKT4_S3_S6_S3_S6_S3_S6_PS1_21rocsparse_index_base_S8_S8_S8_bb
                                        ; -- End function
	.set _ZN9rocsparseL35csrgemm_symbolic_fill_block_per_rowILj1024ELj32ELj2048ELj137ELj64EiiEEvT5_PKS1_S3_PKT4_S3_S6_S3_S6_S3_S6_PS1_21rocsparse_index_base_S8_S8_S8_bb.num_vgpr, 13
	.set _ZN9rocsparseL35csrgemm_symbolic_fill_block_per_rowILj1024ELj32ELj2048ELj137ELj64EiiEEvT5_PKS1_S3_PKT4_S3_S6_S3_S6_S3_S6_PS1_21rocsparse_index_base_S8_S8_S8_bb.num_agpr, 0
	.set _ZN9rocsparseL35csrgemm_symbolic_fill_block_per_rowILj1024ELj32ELj2048ELj137ELj64EiiEEvT5_PKS1_S3_PKT4_S3_S6_S3_S6_S3_S6_PS1_21rocsparse_index_base_S8_S8_S8_bb.numbered_sgpr, 46
	.set _ZN9rocsparseL35csrgemm_symbolic_fill_block_per_rowILj1024ELj32ELj2048ELj137ELj64EiiEEvT5_PKS1_S3_PKT4_S3_S6_S3_S6_S3_S6_PS1_21rocsparse_index_base_S8_S8_S8_bb.num_named_barrier, 0
	.set _ZN9rocsparseL35csrgemm_symbolic_fill_block_per_rowILj1024ELj32ELj2048ELj137ELj64EiiEEvT5_PKS1_S3_PKT4_S3_S6_S3_S6_S3_S6_PS1_21rocsparse_index_base_S8_S8_S8_bb.private_seg_size, 0
	.set _ZN9rocsparseL35csrgemm_symbolic_fill_block_per_rowILj1024ELj32ELj2048ELj137ELj64EiiEEvT5_PKS1_S3_PKT4_S3_S6_S3_S6_S3_S6_PS1_21rocsparse_index_base_S8_S8_S8_bb.uses_vcc, 1
	.set _ZN9rocsparseL35csrgemm_symbolic_fill_block_per_rowILj1024ELj32ELj2048ELj137ELj64EiiEEvT5_PKS1_S3_PKT4_S3_S6_S3_S6_S3_S6_PS1_21rocsparse_index_base_S8_S8_S8_bb.uses_flat_scratch, 0
	.set _ZN9rocsparseL35csrgemm_symbolic_fill_block_per_rowILj1024ELj32ELj2048ELj137ELj64EiiEEvT5_PKS1_S3_PKT4_S3_S6_S3_S6_S3_S6_PS1_21rocsparse_index_base_S8_S8_S8_bb.has_dyn_sized_stack, 0
	.set _ZN9rocsparseL35csrgemm_symbolic_fill_block_per_rowILj1024ELj32ELj2048ELj137ELj64EiiEEvT5_PKS1_S3_PKT4_S3_S6_S3_S6_S3_S6_PS1_21rocsparse_index_base_S8_S8_S8_bb.has_recursion, 0
	.set _ZN9rocsparseL35csrgemm_symbolic_fill_block_per_rowILj1024ELj32ELj2048ELj137ELj64EiiEEvT5_PKS1_S3_PKT4_S3_S6_S3_S6_S3_S6_PS1_21rocsparse_index_base_S8_S8_S8_bb.has_indirect_call, 0
	.section	.AMDGPU.csdata,"",@progbits
; Kernel info:
; codeLenInByte = 2468
; TotalNumSgprs: 50
; NumVgprs: 13
; ScratchSize: 0
; MemoryBound: 0
; FloatMode: 240
; IeeeMode: 1
; LDSByteSize: 0 bytes/workgroup (compile time only)
; SGPRBlocks: 6
; VGPRBlocks: 3
; NumSGPRsForWavesPerEU: 50
; NumVGPRsForWavesPerEU: 13
; Occupancy: 10
; WaveLimiterHint : 1
; COMPUTE_PGM_RSRC2:SCRATCH_EN: 0
; COMPUTE_PGM_RSRC2:USER_SGPR: 6
; COMPUTE_PGM_RSRC2:TRAP_HANDLER: 0
; COMPUTE_PGM_RSRC2:TGID_X_EN: 1
; COMPUTE_PGM_RSRC2:TGID_Y_EN: 0
; COMPUTE_PGM_RSRC2:TGID_Z_EN: 0
; COMPUTE_PGM_RSRC2:TIDIG_COMP_CNT: 0
	.section	.text._ZN9rocsparseL35csrgemm_symbolic_fill_block_per_rowILj1024ELj64ELj4096ELj137ELj32EiiEEvT5_PKS1_S3_PKT4_S3_S6_S3_S6_S3_S6_PS1_21rocsparse_index_base_S8_S8_S8_bb,"axG",@progbits,_ZN9rocsparseL35csrgemm_symbolic_fill_block_per_rowILj1024ELj64ELj4096ELj137ELj32EiiEEvT5_PKS1_S3_PKT4_S3_S6_S3_S6_S3_S6_PS1_21rocsparse_index_base_S8_S8_S8_bb,comdat
	.globl	_ZN9rocsparseL35csrgemm_symbolic_fill_block_per_rowILj1024ELj64ELj4096ELj137ELj32EiiEEvT5_PKS1_S3_PKT4_S3_S6_S3_S6_S3_S6_PS1_21rocsparse_index_base_S8_S8_S8_bb ; -- Begin function _ZN9rocsparseL35csrgemm_symbolic_fill_block_per_rowILj1024ELj64ELj4096ELj137ELj32EiiEEvT5_PKS1_S3_PKT4_S3_S6_S3_S6_S3_S6_PS1_21rocsparse_index_base_S8_S8_S8_bb
	.p2align	8
	.type	_ZN9rocsparseL35csrgemm_symbolic_fill_block_per_rowILj1024ELj64ELj4096ELj137ELj32EiiEEvT5_PKS1_S3_PKT4_S3_S6_S3_S6_S3_S6_PS1_21rocsparse_index_base_S8_S8_S8_bb,@function
_ZN9rocsparseL35csrgemm_symbolic_fill_block_per_rowILj1024ELj64ELj4096ELj137ELj32EiiEEvT5_PKS1_S3_PKT4_S3_S6_S3_S6_S3_S6_PS1_21rocsparse_index_base_S8_S8_S8_bb: ; @_ZN9rocsparseL35csrgemm_symbolic_fill_block_per_rowILj1024ELj64ELj4096ELj137ELj32EiiEEvT5_PKS1_S3_PKT4_S3_S6_S3_S6_S3_S6_PS1_21rocsparse_index_base_S8_S8_S8_bb
; %bb.0:
	s_load_dwordx4 s[68:71], s[4:5], 0x48
	s_load_dwordx8 s[8:15], s[4:5], 0x28
	s_load_dword s33, s[4:5], 0x0
	s_load_dwordx8 s[16:23], s[4:5], 0x8
	v_or_b32_e32 v4, 0xfffffc00, v0
	v_lshl_add_u32 v5, v0, 2, 0
	s_mov_b64 s[0:1], 0
	s_waitcnt lgkmcnt(0)
	v_mov_b32_e32 v1, s33
	s_movk_i32 s2, 0xbff
	v_mov_b32_e32 v2, v5
	v_mov_b32_e32 v3, v4
.LBB14_1:                               ; =>This Inner Loop Header: Depth=1
	v_add_u32_e32 v3, 0x400, v3
	v_cmp_lt_u32_e32 vcc, s2, v3
	ds_write_b32 v2, v1
	s_or_b64 s[0:1], vcc, s[0:1]
	v_add_u32_e32 v2, 0x1000, v2
	s_andn2_b64 exec, exec, s[0:1]
	s_cbranch_execnz .LBB14_1
; %bb.2:
	s_or_b64 exec, exec, s[0:1]
	s_load_dword s28, s[4:5], 0x68
	s_waitcnt lgkmcnt(0)
	s_barrier
	s_load_dword s2, s[16:17], 0x0
	s_load_dwordx4 s[64:67], s[4:5], 0x58
	s_bitcmp1_b32 s28, 0
	s_cselect_b64 s[0:1], -1, 0
	s_mov_b32 s3, 0
	s_waitcnt lgkmcnt(0)
	s_add_i32 s2, s2, s6
	s_lshl_b64 s[2:3], s[2:3], 2
	s_add_u32 s2, s18, s2
	s_addc_u32 s3, s19, s3
	s_load_dword s72, s[2:3], 0x0
	s_and_b64 vcc, exec, s[0:1]
	s_cbranch_vccz .LBB14_18
; %bb.3:
	s_waitcnt lgkmcnt(0)
	s_ashr_i32 s73, s72, 31
	s_lshl_b64 s[0:1], s[72:73], 2
	s_add_u32 s0, s20, s0
	s_addc_u32 s1, s21, s1
	s_load_dwordx2 s[2:3], s[0:1], 0x0
	v_lshrrev_b32_e32 v1, 6, v0
	v_subrev_u32_e32 v1, s64, v1
	s_waitcnt lgkmcnt(0)
	s_sub_i32 s29, s3, s64
	v_add_u32_e32 v1, s2, v1
	v_cmp_gt_i32_e32 vcc, s29, v1
	s_and_saveexec_b64 s[0:1], vcc
	s_cbranch_execz .LBB14_17
; %bb.4:
	v_and_b32_e32 v2, 63, v0
	v_subrev_u32_e32 v6, s65, v2
	s_mov_b64 s[2:3], 0
	v_mov_b32_e32 v7, s23
	v_mov_b32_e32 v8, s9
	s_movk_i32 s9, 0x89
	s_branch .LBB14_6
.LBB14_5:                               ;   in Loop: Header=BB14_6 Depth=1
	s_or_b64 exec, exec, s[4:5]
	v_add_u32_e32 v1, 16, v1
	v_cmp_le_i32_e32 vcc, s29, v1
	s_or_b64 s[2:3], vcc, s[2:3]
	s_andn2_b64 exec, exec, s[2:3]
	s_cbranch_execz .LBB14_17
.LBB14_6:                               ; =>This Loop Header: Depth=1
                                        ;     Child Loop BB14_9 Depth 2
                                        ;       Child Loop BB14_12 Depth 3
	v_ashrrev_i32_e32 v2, 31, v1
	v_lshlrev_b64 v[2:3], 2, v[1:2]
	v_add_co_u32_e32 v2, vcc, s22, v2
	v_addc_co_u32_e32 v3, vcc, v7, v3, vcc
	global_load_dword v2, v[2:3], off
	s_waitcnt vmcnt(0)
	v_subrev_u32_e32 v2, s64, v2
	v_ashrrev_i32_e32 v3, 31, v2
	v_lshlrev_b64 v[2:3], 2, v[2:3]
	v_add_co_u32_e32 v2, vcc, s8, v2
	v_addc_co_u32_e32 v3, vcc, v8, v3, vcc
	global_load_dwordx2 v[2:3], v[2:3], off
	s_waitcnt vmcnt(0)
	v_subrev_u32_e32 v9, s65, v3
	v_add_u32_e32 v2, v2, v6
	v_cmp_lt_i32_e32 vcc, v2, v9
	s_and_saveexec_b64 s[4:5], vcc
	s_cbranch_execz .LBB14_5
; %bb.7:                                ;   in Loop: Header=BB14_6 Depth=1
	s_mov_b64 s[6:7], 0
	s_branch .LBB14_9
.LBB14_8:                               ;   in Loop: Header=BB14_9 Depth=2
	s_or_b64 exec, exec, s[16:17]
	v_add_u32_e32 v2, 64, v2
	v_cmp_ge_i32_e32 vcc, v2, v9
	s_or_b64 s[6:7], vcc, s[6:7]
	s_andn2_b64 exec, exec, s[6:7]
	s_cbranch_execz .LBB14_5
.LBB14_9:                               ;   Parent Loop BB14_6 Depth=1
                                        ; =>  This Loop Header: Depth=2
                                        ;       Child Loop BB14_12 Depth 3
	v_ashrrev_i32_e32 v3, 31, v2
	v_lshlrev_b64 v[10:11], 2, v[2:3]
	v_mov_b32_e32 v3, s11
	v_add_co_u32_e32 v10, vcc, s10, v10
	v_addc_co_u32_e32 v11, vcc, v3, v11, vcc
	global_load_dword v3, v[10:11], off
	s_mov_b64 s[16:17], 0
                                        ; implicit-def: $sgpr18_sgpr19
	s_waitcnt vmcnt(0)
	v_subrev_u32_e32 v3, s65, v3
	v_mul_lo_u32 v10, v3, s9
	v_and_b32_e32 v10, 0xfff, v10
	s_branch .LBB14_12
.LBB14_10:                              ;   in Loop: Header=BB14_12 Depth=3
	s_or_b64 exec, exec, s[24:25]
	s_andn2_b64 s[18:19], s[18:19], exec
	s_and_b64 s[24:25], s[26:27], exec
	s_or_b64 s[18:19], s[18:19], s[24:25]
.LBB14_11:                              ;   in Loop: Header=BB14_12 Depth=3
	s_or_b64 exec, exec, s[20:21]
	s_xor_b64 s[20:21], s[18:19], -1
	s_and_b64 s[20:21], exec, s[20:21]
	s_or_b64 s[16:17], s[20:21], s[16:17]
	s_andn2_b64 exec, exec, s[16:17]
	s_cbranch_execz .LBB14_8
.LBB14_12:                              ;   Parent Loop BB14_6 Depth=1
                                        ;     Parent Loop BB14_9 Depth=2
                                        ; =>    This Inner Loop Header: Depth=3
	v_lshl_add_u32 v11, v10, 2, 0
	ds_read_b32 v12, v11
	s_andn2_b64 s[18:19], s[18:19], exec
	s_waitcnt lgkmcnt(0)
	v_cmp_ne_u32_e32 vcc, v12, v3
	s_and_saveexec_b64 s[20:21], vcc
	s_cbranch_execz .LBB14_11
; %bb.13:                               ;   in Loop: Header=BB14_12 Depth=3
	v_cmp_ne_u32_e32 vcc, s33, v12
	s_and_saveexec_b64 s[24:25], vcc
	s_xor_b64 s[24:25], exec, s[24:25]
; %bb.14:                               ;   in Loop: Header=BB14_12 Depth=3
	v_add_u32_e32 v10, 1, v10
	v_and_b32_e32 v10, 0xfff, v10
                                        ; implicit-def: $vgpr11
; %bb.15:                               ;   in Loop: Header=BB14_12 Depth=3
	s_or_saveexec_b64 s[24:25], s[24:25]
	s_mov_b64 s[26:27], -1
	s_xor_b64 exec, exec, s[24:25]
	s_cbranch_execz .LBB14_10
; %bb.16:                               ;   in Loop: Header=BB14_12 Depth=3
	v_mov_b32_e32 v12, s33
	ds_cmpst_rtn_b32 v11, v11, v12, v3
	s_waitcnt lgkmcnt(0)
	v_cmp_ne_u32_e32 vcc, s33, v11
	s_orn2_b64 s[26:27], vcc, exec
	s_branch .LBB14_10
.LBB14_17:
	s_or_b64 exec, exec, s[0:1]
.LBB14_18:
	s_bfe_u32 s0, s28, 0x10008
	s_cmp_eq_u32 s0, 0
	s_cbranch_scc1 .LBB14_31
; %bb.19:
	s_waitcnt lgkmcnt(0)
	s_ashr_i32 s73, s72, 31
	s_lshl_b64 s[0:1], s[72:73], 2
	s_add_u32 s0, s12, s0
	s_addc_u32 s1, s13, s1
	s_load_dwordx2 s[2:3], s[0:1], 0x0
	v_subrev_u32_e32 v1, s67, v0
	s_waitcnt lgkmcnt(0)
	s_sub_i32 s16, s3, s67
	v_add_u32_e32 v1, s2, v1
	v_cmp_gt_i32_e32 vcc, s16, v1
	s_and_saveexec_b64 s[0:1], vcc
	s_cbranch_execz .LBB14_30
; %bb.20:
	s_mov_b64 s[2:3], 0
	v_mov_b32_e32 v3, s15
	s_movk_i32 s15, 0x89
	s_branch .LBB14_22
.LBB14_21:                              ;   in Loop: Header=BB14_22 Depth=1
	s_or_b64 exec, exec, s[4:5]
	v_add_u32_e32 v1, 0x400, v1
	v_cmp_le_i32_e32 vcc, s16, v1
	s_or_b64 s[2:3], vcc, s[2:3]
	s_andn2_b64 exec, exec, s[2:3]
	s_cbranch_execz .LBB14_30
.LBB14_22:                              ; =>This Loop Header: Depth=1
                                        ;     Child Loop BB14_25 Depth 2
	v_ashrrev_i32_e32 v2, 31, v1
	v_lshlrev_b64 v[6:7], 2, v[1:2]
	s_mov_b64 s[4:5], 0
	v_add_co_u32_e32 v6, vcc, s14, v6
	v_addc_co_u32_e32 v7, vcc, v3, v7, vcc
	global_load_dword v2, v[6:7], off
                                        ; implicit-def: $sgpr6_sgpr7
	s_waitcnt vmcnt(0)
	v_subrev_u32_e32 v2, s67, v2
	v_mul_lo_u32 v6, v2, s15
	v_and_b32_e32 v6, 0xfff, v6
	s_branch .LBB14_25
.LBB14_23:                              ;   in Loop: Header=BB14_25 Depth=2
	s_or_b64 exec, exec, s[10:11]
	s_andn2_b64 s[6:7], s[6:7], exec
	s_and_b64 s[10:11], s[12:13], exec
	s_or_b64 s[6:7], s[6:7], s[10:11]
.LBB14_24:                              ;   in Loop: Header=BB14_25 Depth=2
	s_or_b64 exec, exec, s[8:9]
	s_xor_b64 s[8:9], s[6:7], -1
	s_and_b64 s[8:9], exec, s[8:9]
	s_or_b64 s[4:5], s[8:9], s[4:5]
	s_andn2_b64 exec, exec, s[4:5]
	s_cbranch_execz .LBB14_21
.LBB14_25:                              ;   Parent Loop BB14_22 Depth=1
                                        ; =>  This Inner Loop Header: Depth=2
	v_lshl_add_u32 v7, v6, 2, 0
	ds_read_b32 v8, v7
	s_andn2_b64 s[6:7], s[6:7], exec
	s_waitcnt lgkmcnt(0)
	v_cmp_ne_u32_e32 vcc, v8, v2
	s_and_saveexec_b64 s[8:9], vcc
	s_cbranch_execz .LBB14_24
; %bb.26:                               ;   in Loop: Header=BB14_25 Depth=2
	v_cmp_ne_u32_e32 vcc, s33, v8
	s_and_saveexec_b64 s[10:11], vcc
	s_xor_b64 s[10:11], exec, s[10:11]
; %bb.27:                               ;   in Loop: Header=BB14_25 Depth=2
	v_add_u32_e32 v6, 1, v6
	v_and_b32_e32 v6, 0xfff, v6
                                        ; implicit-def: $vgpr7
; %bb.28:                               ;   in Loop: Header=BB14_25 Depth=2
	s_or_saveexec_b64 s[10:11], s[10:11]
	s_mov_b64 s[12:13], -1
	s_xor_b64 exec, exec, s[10:11]
	s_cbranch_execz .LBB14_23
; %bb.29:                               ;   in Loop: Header=BB14_25 Depth=2
	v_mov_b32_e32 v8, s33
	ds_cmpst_rtn_b32 v7, v7, v8, v2
	s_waitcnt lgkmcnt(0)
	v_cmp_ne_u32_e32 vcc, s33, v7
	s_orn2_b64 s[12:13], vcc, exec
	s_branch .LBB14_23
.LBB14_30:
	s_or_b64 exec, exec, s[0:1]
.LBB14_31:
	v_mbcnt_lo_u32_b32 v1, -1, 0
	v_mbcnt_hi_u32_b32 v1, -1, v1
	v_sub_u32_e32 v1, 63, v1
	v_lshrrev_b32_e32 v6, 3, v0
	s_movk_i32 s0, 0x3ff
	v_lshrrev_b64 v[1:2], v1, -1
	v_and_b32_e32 v6, 0x7c, v6
	v_cmp_eq_u32_e32 vcc, s0, v0
	s_movk_i32 s0, 0x5f
	s_movk_i32 s2, 0x7f
	;; [unrolled: 1-line block ×29, first 2 shown]
	v_mov_b32_e32 v3, 0
	v_add_u32_e32 v6, 0, v6
	v_cmp_lt_u32_e64 s[0:1], s0, v0
	v_cmp_lt_u32_e64 s[2:3], s2, v0
	;; [unrolled: 1-line block ×29, first 2 shown]
	v_mov_b32_e32 v7, 0
	s_movk_i32 s67, 0xbff
	v_cmp_lt_u32_e64 s[60:61], 31, v0
	v_cmp_lt_u32_e64 s[62:63], 63, v0
	s_mov_b64 s[74:75], 0
	s_waitcnt lgkmcnt(0)
	s_barrier
	s_branch .LBB14_33
.LBB14_32:                              ;   in Loop: Header=BB14_33 Depth=1
	s_or_b64 exec, exec, s[64:65]
	s_waitcnt lgkmcnt(0)
	s_barrier
	ds_read_b32 v8, v3 offset:16508
	v_add_u32_e32 v4, 0x400, v4
	v_cmp_lt_u32_e64 s[64:65], s67, v4
	s_or_b64 s[74:75], s[64:65], s[74:75]
	v_add_u32_e32 v5, 0x1000, v5
	s_waitcnt lgkmcnt(0)
	v_add_u32_e32 v7, v8, v7
	s_andn2_b64 exec, exec, s[74:75]
	s_cbranch_execz .LBB14_99
.LBB14_33:                              ; =>This Inner Loop Header: Depth=1
	ds_read_b32 v8, v5
	s_waitcnt lgkmcnt(0)
	s_barrier
	v_cmp_gt_i32_e64 s[64:65], s33, v8
	v_and_b32_e32 v10, s64, v1
	s_bcnt1_i32_b64 s73, s[64:65]
	v_and_b32_e32 v9, s65, v2
	v_bcnt_u32_b32 v10, v10, 0
	v_bcnt_u32_b32 v9, v9, v10
	v_mov_b32_e32 v10, s73
	ds_write_b32 v6, v10 offset:16384
	s_waitcnt lgkmcnt(0)
	s_barrier
	s_and_saveexec_b64 s[76:77], s[60:61]
	s_cbranch_execnz .LBB14_66
; %bb.34:                               ;   in Loop: Header=BB14_33 Depth=1
	s_or_b64 exec, exec, s[76:77]
	s_and_saveexec_b64 s[76:77], s[62:63]
	s_cbranch_execnz .LBB14_67
.LBB14_35:                              ;   in Loop: Header=BB14_33 Depth=1
	s_or_b64 exec, exec, s[76:77]
	s_and_saveexec_b64 s[76:77], s[0:1]
	s_cbranch_execnz .LBB14_68
.LBB14_36:                              ;   in Loop: Header=BB14_33 Depth=1
	s_or_b64 exec, exec, s[76:77]
	s_and_saveexec_b64 s[76:77], s[2:3]
	s_cbranch_execnz .LBB14_69
.LBB14_37:                              ;   in Loop: Header=BB14_33 Depth=1
	s_or_b64 exec, exec, s[76:77]
	s_and_saveexec_b64 s[76:77], s[4:5]
	s_cbranch_execnz .LBB14_70
.LBB14_38:                              ;   in Loop: Header=BB14_33 Depth=1
	s_or_b64 exec, exec, s[76:77]
	s_and_saveexec_b64 s[76:77], s[6:7]
	s_cbranch_execnz .LBB14_71
.LBB14_39:                              ;   in Loop: Header=BB14_33 Depth=1
	s_or_b64 exec, exec, s[76:77]
	s_and_saveexec_b64 s[76:77], s[8:9]
	s_cbranch_execnz .LBB14_72
.LBB14_40:                              ;   in Loop: Header=BB14_33 Depth=1
	s_or_b64 exec, exec, s[76:77]
	s_and_saveexec_b64 s[76:77], s[10:11]
	s_cbranch_execnz .LBB14_73
.LBB14_41:                              ;   in Loop: Header=BB14_33 Depth=1
	s_or_b64 exec, exec, s[76:77]
	s_and_saveexec_b64 s[76:77], s[12:13]
	s_cbranch_execnz .LBB14_74
.LBB14_42:                              ;   in Loop: Header=BB14_33 Depth=1
	s_or_b64 exec, exec, s[76:77]
	s_and_saveexec_b64 s[76:77], s[14:15]
	s_cbranch_execnz .LBB14_75
.LBB14_43:                              ;   in Loop: Header=BB14_33 Depth=1
	s_or_b64 exec, exec, s[76:77]
	s_and_saveexec_b64 s[76:77], s[16:17]
	s_cbranch_execnz .LBB14_76
.LBB14_44:                              ;   in Loop: Header=BB14_33 Depth=1
	s_or_b64 exec, exec, s[76:77]
	s_and_saveexec_b64 s[76:77], s[18:19]
	s_cbranch_execnz .LBB14_77
.LBB14_45:                              ;   in Loop: Header=BB14_33 Depth=1
	s_or_b64 exec, exec, s[76:77]
	s_and_saveexec_b64 s[76:77], s[20:21]
	s_cbranch_execnz .LBB14_78
.LBB14_46:                              ;   in Loop: Header=BB14_33 Depth=1
	s_or_b64 exec, exec, s[76:77]
	s_and_saveexec_b64 s[76:77], s[22:23]
	s_cbranch_execnz .LBB14_79
.LBB14_47:                              ;   in Loop: Header=BB14_33 Depth=1
	s_or_b64 exec, exec, s[76:77]
	s_and_saveexec_b64 s[76:77], s[24:25]
	s_cbranch_execnz .LBB14_80
.LBB14_48:                              ;   in Loop: Header=BB14_33 Depth=1
	s_or_b64 exec, exec, s[76:77]
	s_and_saveexec_b64 s[76:77], s[26:27]
	s_cbranch_execnz .LBB14_81
.LBB14_49:                              ;   in Loop: Header=BB14_33 Depth=1
	s_or_b64 exec, exec, s[76:77]
	s_and_saveexec_b64 s[76:77], s[28:29]
	s_cbranch_execnz .LBB14_82
.LBB14_50:                              ;   in Loop: Header=BB14_33 Depth=1
	s_or_b64 exec, exec, s[76:77]
	s_and_saveexec_b64 s[76:77], s[30:31]
	s_cbranch_execnz .LBB14_83
.LBB14_51:                              ;   in Loop: Header=BB14_33 Depth=1
	s_or_b64 exec, exec, s[76:77]
	s_and_saveexec_b64 s[76:77], s[34:35]
	s_cbranch_execnz .LBB14_84
.LBB14_52:                              ;   in Loop: Header=BB14_33 Depth=1
	s_or_b64 exec, exec, s[76:77]
	s_and_saveexec_b64 s[76:77], s[36:37]
	s_cbranch_execnz .LBB14_85
.LBB14_53:                              ;   in Loop: Header=BB14_33 Depth=1
	s_or_b64 exec, exec, s[76:77]
	s_and_saveexec_b64 s[76:77], s[38:39]
	s_cbranch_execnz .LBB14_86
.LBB14_54:                              ;   in Loop: Header=BB14_33 Depth=1
	s_or_b64 exec, exec, s[76:77]
	s_and_saveexec_b64 s[76:77], s[40:41]
	s_cbranch_execnz .LBB14_87
.LBB14_55:                              ;   in Loop: Header=BB14_33 Depth=1
	s_or_b64 exec, exec, s[76:77]
	s_and_saveexec_b64 s[76:77], s[42:43]
	s_cbranch_execnz .LBB14_88
.LBB14_56:                              ;   in Loop: Header=BB14_33 Depth=1
	s_or_b64 exec, exec, s[76:77]
	s_and_saveexec_b64 s[76:77], s[44:45]
	s_cbranch_execnz .LBB14_89
.LBB14_57:                              ;   in Loop: Header=BB14_33 Depth=1
	s_or_b64 exec, exec, s[76:77]
	s_and_saveexec_b64 s[76:77], s[46:47]
	s_cbranch_execnz .LBB14_90
.LBB14_58:                              ;   in Loop: Header=BB14_33 Depth=1
	s_or_b64 exec, exec, s[76:77]
	s_and_saveexec_b64 s[76:77], s[48:49]
	s_cbranch_execnz .LBB14_91
.LBB14_59:                              ;   in Loop: Header=BB14_33 Depth=1
	s_or_b64 exec, exec, s[76:77]
	s_and_saveexec_b64 s[76:77], s[50:51]
	s_cbranch_execnz .LBB14_92
.LBB14_60:                              ;   in Loop: Header=BB14_33 Depth=1
	s_or_b64 exec, exec, s[76:77]
	s_and_saveexec_b64 s[76:77], s[52:53]
	s_cbranch_execnz .LBB14_93
.LBB14_61:                              ;   in Loop: Header=BB14_33 Depth=1
	s_or_b64 exec, exec, s[76:77]
	s_and_saveexec_b64 s[76:77], s[54:55]
	s_cbranch_execnz .LBB14_94
.LBB14_62:                              ;   in Loop: Header=BB14_33 Depth=1
	s_or_b64 exec, exec, s[76:77]
	s_and_saveexec_b64 s[76:77], s[56:57]
	s_cbranch_execnz .LBB14_95
.LBB14_63:                              ;   in Loop: Header=BB14_33 Depth=1
	s_or_b64 exec, exec, s[76:77]
	s_and_saveexec_b64 s[76:77], s[58:59]
	s_cbranch_execnz .LBB14_96
.LBB14_64:                              ;   in Loop: Header=BB14_33 Depth=1
	s_or_b64 exec, exec, s[76:77]
	s_and_saveexec_b64 s[76:77], s[64:65]
	s_cbranch_execnz .LBB14_97
.LBB14_65:                              ;   in Loop: Header=BB14_33 Depth=1
	s_or_b64 exec, exec, s[76:77]
	s_and_saveexec_b64 s[64:65], vcc
	s_cbranch_execz .LBB14_32
	s_branch .LBB14_98
.LBB14_66:                              ;   in Loop: Header=BB14_33 Depth=1
	ds_read_b32 v10, v3 offset:16384
	s_waitcnt lgkmcnt(0)
	v_add_u32_e32 v9, v10, v9
	s_or_b64 exec, exec, s[76:77]
	s_and_saveexec_b64 s[76:77], s[62:63]
	s_cbranch_execz .LBB14_35
.LBB14_67:                              ;   in Loop: Header=BB14_33 Depth=1
	ds_read_b32 v10, v3 offset:16388
	s_waitcnt lgkmcnt(0)
	v_add_u32_e32 v9, v10, v9
	s_or_b64 exec, exec, s[76:77]
	s_and_saveexec_b64 s[76:77], s[0:1]
	s_cbranch_execz .LBB14_36
.LBB14_68:                              ;   in Loop: Header=BB14_33 Depth=1
	ds_read_b32 v10, v3 offset:16392
	s_waitcnt lgkmcnt(0)
	v_add_u32_e32 v9, v10, v9
	s_or_b64 exec, exec, s[76:77]
	s_and_saveexec_b64 s[76:77], s[2:3]
	s_cbranch_execz .LBB14_37
.LBB14_69:                              ;   in Loop: Header=BB14_33 Depth=1
	ds_read_b32 v10, v3 offset:16396
	s_waitcnt lgkmcnt(0)
	v_add_u32_e32 v9, v10, v9
	s_or_b64 exec, exec, s[76:77]
	s_and_saveexec_b64 s[76:77], s[4:5]
	s_cbranch_execz .LBB14_38
.LBB14_70:                              ;   in Loop: Header=BB14_33 Depth=1
	ds_read_b32 v10, v3 offset:16400
	s_waitcnt lgkmcnt(0)
	v_add_u32_e32 v9, v10, v9
	s_or_b64 exec, exec, s[76:77]
	s_and_saveexec_b64 s[76:77], s[6:7]
	s_cbranch_execz .LBB14_39
.LBB14_71:                              ;   in Loop: Header=BB14_33 Depth=1
	ds_read_b32 v10, v3 offset:16404
	s_waitcnt lgkmcnt(0)
	v_add_u32_e32 v9, v10, v9
	s_or_b64 exec, exec, s[76:77]
	s_and_saveexec_b64 s[76:77], s[8:9]
	s_cbranch_execz .LBB14_40
.LBB14_72:                              ;   in Loop: Header=BB14_33 Depth=1
	ds_read_b32 v10, v3 offset:16408
	s_waitcnt lgkmcnt(0)
	v_add_u32_e32 v9, v10, v9
	s_or_b64 exec, exec, s[76:77]
	s_and_saveexec_b64 s[76:77], s[10:11]
	s_cbranch_execz .LBB14_41
.LBB14_73:                              ;   in Loop: Header=BB14_33 Depth=1
	ds_read_b32 v10, v3 offset:16412
	s_waitcnt lgkmcnt(0)
	v_add_u32_e32 v9, v10, v9
	s_or_b64 exec, exec, s[76:77]
	s_and_saveexec_b64 s[76:77], s[12:13]
	s_cbranch_execz .LBB14_42
.LBB14_74:                              ;   in Loop: Header=BB14_33 Depth=1
	ds_read_b32 v10, v3 offset:16416
	s_waitcnt lgkmcnt(0)
	v_add_u32_e32 v9, v10, v9
	s_or_b64 exec, exec, s[76:77]
	s_and_saveexec_b64 s[76:77], s[14:15]
	s_cbranch_execz .LBB14_43
.LBB14_75:                              ;   in Loop: Header=BB14_33 Depth=1
	ds_read_b32 v10, v3 offset:16420
	s_waitcnt lgkmcnt(0)
	v_add_u32_e32 v9, v10, v9
	s_or_b64 exec, exec, s[76:77]
	s_and_saveexec_b64 s[76:77], s[16:17]
	s_cbranch_execz .LBB14_44
.LBB14_76:                              ;   in Loop: Header=BB14_33 Depth=1
	ds_read_b32 v10, v3 offset:16424
	s_waitcnt lgkmcnt(0)
	v_add_u32_e32 v9, v10, v9
	s_or_b64 exec, exec, s[76:77]
	s_and_saveexec_b64 s[76:77], s[18:19]
	s_cbranch_execz .LBB14_45
.LBB14_77:                              ;   in Loop: Header=BB14_33 Depth=1
	ds_read_b32 v10, v3 offset:16428
	s_waitcnt lgkmcnt(0)
	v_add_u32_e32 v9, v10, v9
	s_or_b64 exec, exec, s[76:77]
	s_and_saveexec_b64 s[76:77], s[20:21]
	s_cbranch_execz .LBB14_46
.LBB14_78:                              ;   in Loop: Header=BB14_33 Depth=1
	ds_read_b32 v10, v3 offset:16432
	s_waitcnt lgkmcnt(0)
	v_add_u32_e32 v9, v10, v9
	s_or_b64 exec, exec, s[76:77]
	s_and_saveexec_b64 s[76:77], s[22:23]
	s_cbranch_execz .LBB14_47
.LBB14_79:                              ;   in Loop: Header=BB14_33 Depth=1
	ds_read_b32 v10, v3 offset:16436
	s_waitcnt lgkmcnt(0)
	v_add_u32_e32 v9, v10, v9
	s_or_b64 exec, exec, s[76:77]
	s_and_saveexec_b64 s[76:77], s[24:25]
	s_cbranch_execz .LBB14_48
.LBB14_80:                              ;   in Loop: Header=BB14_33 Depth=1
	ds_read_b32 v10, v3 offset:16440
	s_waitcnt lgkmcnt(0)
	v_add_u32_e32 v9, v10, v9
	s_or_b64 exec, exec, s[76:77]
	s_and_saveexec_b64 s[76:77], s[26:27]
	s_cbranch_execz .LBB14_49
.LBB14_81:                              ;   in Loop: Header=BB14_33 Depth=1
	ds_read_b32 v10, v3 offset:16444
	s_waitcnt lgkmcnt(0)
	v_add_u32_e32 v9, v10, v9
	s_or_b64 exec, exec, s[76:77]
	s_and_saveexec_b64 s[76:77], s[28:29]
	s_cbranch_execz .LBB14_50
.LBB14_82:                              ;   in Loop: Header=BB14_33 Depth=1
	ds_read_b32 v10, v3 offset:16448
	s_waitcnt lgkmcnt(0)
	v_add_u32_e32 v9, v10, v9
	s_or_b64 exec, exec, s[76:77]
	s_and_saveexec_b64 s[76:77], s[30:31]
	s_cbranch_execz .LBB14_51
.LBB14_83:                              ;   in Loop: Header=BB14_33 Depth=1
	ds_read_b32 v10, v3 offset:16452
	s_waitcnt lgkmcnt(0)
	v_add_u32_e32 v9, v10, v9
	s_or_b64 exec, exec, s[76:77]
	s_and_saveexec_b64 s[76:77], s[34:35]
	s_cbranch_execz .LBB14_52
.LBB14_84:                              ;   in Loop: Header=BB14_33 Depth=1
	ds_read_b32 v10, v3 offset:16456
	s_waitcnt lgkmcnt(0)
	v_add_u32_e32 v9, v10, v9
	s_or_b64 exec, exec, s[76:77]
	s_and_saveexec_b64 s[76:77], s[36:37]
	s_cbranch_execz .LBB14_53
.LBB14_85:                              ;   in Loop: Header=BB14_33 Depth=1
	ds_read_b32 v10, v3 offset:16460
	s_waitcnt lgkmcnt(0)
	v_add_u32_e32 v9, v10, v9
	s_or_b64 exec, exec, s[76:77]
	s_and_saveexec_b64 s[76:77], s[38:39]
	s_cbranch_execz .LBB14_54
.LBB14_86:                              ;   in Loop: Header=BB14_33 Depth=1
	ds_read_b32 v10, v3 offset:16464
	s_waitcnt lgkmcnt(0)
	v_add_u32_e32 v9, v10, v9
	s_or_b64 exec, exec, s[76:77]
	s_and_saveexec_b64 s[76:77], s[40:41]
	s_cbranch_execz .LBB14_55
.LBB14_87:                              ;   in Loop: Header=BB14_33 Depth=1
	ds_read_b32 v10, v3 offset:16468
	s_waitcnt lgkmcnt(0)
	v_add_u32_e32 v9, v10, v9
	s_or_b64 exec, exec, s[76:77]
	s_and_saveexec_b64 s[76:77], s[42:43]
	s_cbranch_execz .LBB14_56
.LBB14_88:                              ;   in Loop: Header=BB14_33 Depth=1
	ds_read_b32 v10, v3 offset:16472
	s_waitcnt lgkmcnt(0)
	v_add_u32_e32 v9, v10, v9
	s_or_b64 exec, exec, s[76:77]
	s_and_saveexec_b64 s[76:77], s[44:45]
	s_cbranch_execz .LBB14_57
.LBB14_89:                              ;   in Loop: Header=BB14_33 Depth=1
	ds_read_b32 v10, v3 offset:16476
	s_waitcnt lgkmcnt(0)
	v_add_u32_e32 v9, v10, v9
	s_or_b64 exec, exec, s[76:77]
	s_and_saveexec_b64 s[76:77], s[46:47]
	s_cbranch_execz .LBB14_58
.LBB14_90:                              ;   in Loop: Header=BB14_33 Depth=1
	ds_read_b32 v10, v3 offset:16480
	s_waitcnt lgkmcnt(0)
	v_add_u32_e32 v9, v10, v9
	s_or_b64 exec, exec, s[76:77]
	s_and_saveexec_b64 s[76:77], s[48:49]
	s_cbranch_execz .LBB14_59
.LBB14_91:                              ;   in Loop: Header=BB14_33 Depth=1
	ds_read_b32 v10, v3 offset:16484
	s_waitcnt lgkmcnt(0)
	v_add_u32_e32 v9, v10, v9
	s_or_b64 exec, exec, s[76:77]
	s_and_saveexec_b64 s[76:77], s[50:51]
	s_cbranch_execz .LBB14_60
.LBB14_92:                              ;   in Loop: Header=BB14_33 Depth=1
	ds_read_b32 v10, v3 offset:16488
	s_waitcnt lgkmcnt(0)
	v_add_u32_e32 v9, v10, v9
	s_or_b64 exec, exec, s[76:77]
	s_and_saveexec_b64 s[76:77], s[52:53]
	s_cbranch_execz .LBB14_61
.LBB14_93:                              ;   in Loop: Header=BB14_33 Depth=1
	ds_read_b32 v10, v3 offset:16492
	s_waitcnt lgkmcnt(0)
	v_add_u32_e32 v9, v10, v9
	s_or_b64 exec, exec, s[76:77]
	s_and_saveexec_b64 s[76:77], s[54:55]
	s_cbranch_execz .LBB14_62
.LBB14_94:                              ;   in Loop: Header=BB14_33 Depth=1
	ds_read_b32 v10, v3 offset:16496
	s_waitcnt lgkmcnt(0)
	v_add_u32_e32 v9, v10, v9
	s_or_b64 exec, exec, s[76:77]
	s_and_saveexec_b64 s[76:77], s[56:57]
	s_cbranch_execz .LBB14_63
.LBB14_95:                              ;   in Loop: Header=BB14_33 Depth=1
	ds_read_b32 v10, v3 offset:16500
	s_waitcnt lgkmcnt(0)
	v_add_u32_e32 v9, v10, v9
	s_or_b64 exec, exec, s[76:77]
	s_and_saveexec_b64 s[76:77], s[58:59]
	s_cbranch_execz .LBB14_64
.LBB14_96:                              ;   in Loop: Header=BB14_33 Depth=1
	ds_read_b32 v10, v3 offset:16504
	s_waitcnt lgkmcnt(0)
	v_add_u32_e32 v9, v10, v9
	s_or_b64 exec, exec, s[76:77]
	s_and_saveexec_b64 s[76:77], s[64:65]
	s_cbranch_execz .LBB14_65
.LBB14_97:                              ;   in Loop: Header=BB14_33 Depth=1
	v_lshlrev_b32_e32 v10, 2, v7
	v_add_u32_e32 v10, 0, v10
	v_lshlrev_b32_e32 v11, 2, v9
	v_add3_u32 v10, v10, v11, -4
	ds_write_b32 v10, v8
	s_or_b64 exec, exec, s[76:77]
	s_and_saveexec_b64 s[64:65], vcc
	s_cbranch_execz .LBB14_32
.LBB14_98:                              ;   in Loop: Header=BB14_33 Depth=1
	ds_write_b32 v3, v9 offset:16508
	s_branch .LBB14_32
.LBB14_99:
	s_or_b64 exec, exec, s[74:75]
	s_ashr_i32 s73, s72, 31
	s_lshl_b64 s[0:1], s[72:73], 2
	s_add_u32 s2, s68, s0
	s_addc_u32 s3, s69, s1
	s_load_dwordx2 s[0:1], s[2:3], 0x0
	s_waitcnt lgkmcnt(0)
	s_sub_i32 s6, s1, s0
	v_cmp_gt_i32_e32 vcc, s6, v0
	s_and_saveexec_b64 s[2:3], vcc
	s_cbranch_execz .LBB14_109
; %bb.100:
	s_sub_i32 s7, s0, s66
	s_and_b32 s8, s6, 7
	s_sub_i32 s0, s0, s1
	s_cmp_lt_u32 s0, -7
	s_cselect_b64 s[0:1], -1, 0
	s_and_b32 s9, s6, -8
	s_cmp_lg_u32 s8, 0
	v_cndmask_b32_e64 v1, 0, 1, s[0:1]
	s_cselect_b64 s[2:3], -1, 0
	v_cmp_ne_u32_e64 s[0:1], 1, v1
	v_cndmask_b32_e64 v1, 0, 1, s[2:3]
	s_mov_b64 s[4:5], 0
	v_cmp_ne_u32_e64 s[2:3], 1, v1
	v_mov_b32_e32 v3, s71
	s_branch .LBB14_102
.LBB14_101:                             ;   in Loop: Header=BB14_102 Depth=1
	s_waitcnt lgkmcnt(0)
	v_add_u32_e32 v4, s66, v2
	v_ashrrev_i32_e32 v2, 31, v1
	v_lshlrev_b64 v[1:2], 2, v[1:2]
	v_add_u32_e32 v0, 0x400, v0
	v_add_co_u32_e32 v1, vcc, s70, v1
	v_addc_co_u32_e32 v2, vcc, v3, v2, vcc
	v_cmp_le_i32_e32 vcc, s6, v0
	s_or_b64 s[4:5], vcc, s[4:5]
	global_store_dword v[1:2], v4, off
	s_andn2_b64 exec, exec, s[4:5]
	s_cbranch_execz .LBB14_109
.LBB14_102:                             ; =>This Loop Header: Depth=1
                                        ;     Child Loop BB14_104 Depth 2
                                        ;     Child Loop BB14_108 Depth 2
	v_lshl_add_u32 v1, v0, 2, 0
	ds_read_b32 v2, v1
	s_and_b64 vcc, exec, s[0:1]
	v_mov_b32_e32 v1, s7
	s_mov_b32 s10, 0
	s_cbranch_vccnz .LBB14_106
; %bb.103:                              ;   in Loop: Header=BB14_102 Depth=1
	s_mov_b32 s11, 0
	v_mov_b32_e32 v1, s7
.LBB14_104:                             ;   Parent Loop BB14_102 Depth=1
                                        ; =>  This Inner Loop Header: Depth=2
	v_mov_b32_e32 v10, s11
	ds_read2_b32 v[4:5], v10 offset1:1
	ds_read2_b32 v[6:7], v10 offset0:2 offset1:3
	ds_read2_b32 v[8:9], v10 offset0:4 offset1:5
	;; [unrolled: 1-line block ×3, first 2 shown]
	s_add_i32 s10, s10, 8
	s_waitcnt lgkmcnt(3)
	v_cmp_gt_i32_e32 vcc, v2, v4
	v_cndmask_b32_e64 v4, 0, 1, vcc
	s_waitcnt lgkmcnt(2)
	v_cmp_gt_i32_e32 vcc, v2, v6
	v_cndmask_b32_e64 v6, 0, 1, vcc
	;; [unrolled: 3-line block ×4, first 2 shown]
	v_cmp_gt_i32_e32 vcc, v2, v5
	v_addc_co_u32_e32 v1, vcc, v1, v4, vcc
	v_cmp_gt_i32_e32 vcc, v2, v7
	v_addc_co_u32_e32 v1, vcc, v1, v6, vcc
	;; [unrolled: 2-line block ×3, first 2 shown]
	s_add_i32 s11, s11, 32
	v_cmp_gt_i32_e32 vcc, v2, v11
	s_cmp_eq_u32 s9, s10
	v_addc_co_u32_e32 v1, vcc, v1, v10, vcc
	s_cbranch_scc0 .LBB14_104
; %bb.105:                              ;   in Loop: Header=BB14_102 Depth=1
	s_mov_b32 s10, s9
.LBB14_106:                             ;   in Loop: Header=BB14_102 Depth=1
	s_and_b64 vcc, exec, s[2:3]
	s_cbranch_vccnz .LBB14_101
; %bb.107:                              ;   in Loop: Header=BB14_102 Depth=1
	s_lshl_b32 s10, s10, 2
	s_add_i32 s10, s10, 0
	s_mov_b32 s11, s8
.LBB14_108:                             ;   Parent Loop BB14_102 Depth=1
                                        ; =>  This Inner Loop Header: Depth=2
	v_mov_b32_e32 v4, s10
	ds_read_b32 v4, v4
	s_add_i32 s10, s10, 4
	s_add_i32 s11, s11, -1
	s_cmp_lg_u32 s11, 0
	s_waitcnt lgkmcnt(0)
	v_cmp_gt_i32_e32 vcc, v2, v4
	v_addc_co_u32_e32 v1, vcc, 0, v1, vcc
	s_cbranch_scc1 .LBB14_108
	s_branch .LBB14_101
.LBB14_109:
	s_endpgm
	.section	.rodata,"a",@progbits
	.p2align	6, 0x0
	.amdhsa_kernel _ZN9rocsparseL35csrgemm_symbolic_fill_block_per_rowILj1024ELj64ELj4096ELj137ELj32EiiEEvT5_PKS1_S3_PKT4_S3_S6_S3_S6_S3_S6_PS1_21rocsparse_index_base_S8_S8_S8_bb
		.amdhsa_group_segment_fixed_size 0
		.amdhsa_private_segment_fixed_size 0
		.amdhsa_kernarg_size 108
		.amdhsa_user_sgpr_count 6
		.amdhsa_user_sgpr_private_segment_buffer 1
		.amdhsa_user_sgpr_dispatch_ptr 0
		.amdhsa_user_sgpr_queue_ptr 0
		.amdhsa_user_sgpr_kernarg_segment_ptr 1
		.amdhsa_user_sgpr_dispatch_id 0
		.amdhsa_user_sgpr_flat_scratch_init 0
		.amdhsa_user_sgpr_private_segment_size 0
		.amdhsa_uses_dynamic_stack 0
		.amdhsa_system_sgpr_private_segment_wavefront_offset 0
		.amdhsa_system_sgpr_workgroup_id_x 1
		.amdhsa_system_sgpr_workgroup_id_y 0
		.amdhsa_system_sgpr_workgroup_id_z 0
		.amdhsa_system_sgpr_workgroup_info 0
		.amdhsa_system_vgpr_workitem_id 0
		.amdhsa_next_free_vgpr 13
		.amdhsa_next_free_sgpr 78
		.amdhsa_reserve_vcc 1
		.amdhsa_reserve_flat_scratch 0
		.amdhsa_float_round_mode_32 0
		.amdhsa_float_round_mode_16_64 0
		.amdhsa_float_denorm_mode_32 3
		.amdhsa_float_denorm_mode_16_64 3
		.amdhsa_dx10_clamp 1
		.amdhsa_ieee_mode 1
		.amdhsa_fp16_overflow 0
		.amdhsa_exception_fp_ieee_invalid_op 0
		.amdhsa_exception_fp_denorm_src 0
		.amdhsa_exception_fp_ieee_div_zero 0
		.amdhsa_exception_fp_ieee_overflow 0
		.amdhsa_exception_fp_ieee_underflow 0
		.amdhsa_exception_fp_ieee_inexact 0
		.amdhsa_exception_int_div_zero 0
	.end_amdhsa_kernel
	.section	.text._ZN9rocsparseL35csrgemm_symbolic_fill_block_per_rowILj1024ELj64ELj4096ELj137ELj32EiiEEvT5_PKS1_S3_PKT4_S3_S6_S3_S6_S3_S6_PS1_21rocsparse_index_base_S8_S8_S8_bb,"axG",@progbits,_ZN9rocsparseL35csrgemm_symbolic_fill_block_per_rowILj1024ELj64ELj4096ELj137ELj32EiiEEvT5_PKS1_S3_PKT4_S3_S6_S3_S6_S3_S6_PS1_21rocsparse_index_base_S8_S8_S8_bb,comdat
.Lfunc_end14:
	.size	_ZN9rocsparseL35csrgemm_symbolic_fill_block_per_rowILj1024ELj64ELj4096ELj137ELj32EiiEEvT5_PKS1_S3_PKT4_S3_S6_S3_S6_S3_S6_PS1_21rocsparse_index_base_S8_S8_S8_bb, .Lfunc_end14-_ZN9rocsparseL35csrgemm_symbolic_fill_block_per_rowILj1024ELj64ELj4096ELj137ELj32EiiEEvT5_PKS1_S3_PKT4_S3_S6_S3_S6_S3_S6_PS1_21rocsparse_index_base_S8_S8_S8_bb
                                        ; -- End function
	.set _ZN9rocsparseL35csrgemm_symbolic_fill_block_per_rowILj1024ELj64ELj4096ELj137ELj32EiiEEvT5_PKS1_S3_PKT4_S3_S6_S3_S6_S3_S6_PS1_21rocsparse_index_base_S8_S8_S8_bb.num_vgpr, 13
	.set _ZN9rocsparseL35csrgemm_symbolic_fill_block_per_rowILj1024ELj64ELj4096ELj137ELj32EiiEEvT5_PKS1_S3_PKT4_S3_S6_S3_S6_S3_S6_PS1_21rocsparse_index_base_S8_S8_S8_bb.num_agpr, 0
	.set _ZN9rocsparseL35csrgemm_symbolic_fill_block_per_rowILj1024ELj64ELj4096ELj137ELj32EiiEEvT5_PKS1_S3_PKT4_S3_S6_S3_S6_S3_S6_PS1_21rocsparse_index_base_S8_S8_S8_bb.numbered_sgpr, 78
	.set _ZN9rocsparseL35csrgemm_symbolic_fill_block_per_rowILj1024ELj64ELj4096ELj137ELj32EiiEEvT5_PKS1_S3_PKT4_S3_S6_S3_S6_S3_S6_PS1_21rocsparse_index_base_S8_S8_S8_bb.num_named_barrier, 0
	.set _ZN9rocsparseL35csrgemm_symbolic_fill_block_per_rowILj1024ELj64ELj4096ELj137ELj32EiiEEvT5_PKS1_S3_PKT4_S3_S6_S3_S6_S3_S6_PS1_21rocsparse_index_base_S8_S8_S8_bb.private_seg_size, 0
	.set _ZN9rocsparseL35csrgemm_symbolic_fill_block_per_rowILj1024ELj64ELj4096ELj137ELj32EiiEEvT5_PKS1_S3_PKT4_S3_S6_S3_S6_S3_S6_PS1_21rocsparse_index_base_S8_S8_S8_bb.uses_vcc, 1
	.set _ZN9rocsparseL35csrgemm_symbolic_fill_block_per_rowILj1024ELj64ELj4096ELj137ELj32EiiEEvT5_PKS1_S3_PKT4_S3_S6_S3_S6_S3_S6_PS1_21rocsparse_index_base_S8_S8_S8_bb.uses_flat_scratch, 0
	.set _ZN9rocsparseL35csrgemm_symbolic_fill_block_per_rowILj1024ELj64ELj4096ELj137ELj32EiiEEvT5_PKS1_S3_PKT4_S3_S6_S3_S6_S3_S6_PS1_21rocsparse_index_base_S8_S8_S8_bb.has_dyn_sized_stack, 0
	.set _ZN9rocsparseL35csrgemm_symbolic_fill_block_per_rowILj1024ELj64ELj4096ELj137ELj32EiiEEvT5_PKS1_S3_PKT4_S3_S6_S3_S6_S3_S6_PS1_21rocsparse_index_base_S8_S8_S8_bb.has_recursion, 0
	.set _ZN9rocsparseL35csrgemm_symbolic_fill_block_per_rowILj1024ELj64ELj4096ELj137ELj32EiiEEvT5_PKS1_S3_PKT4_S3_S6_S3_S6_S3_S6_PS1_21rocsparse_index_base_S8_S8_S8_bb.has_indirect_call, 0
	.section	.AMDGPU.csdata,"",@progbits
; Kernel info:
; codeLenInByte = 3304
; TotalNumSgprs: 82
; NumVgprs: 13
; ScratchSize: 0
; MemoryBound: 0
; FloatMode: 240
; IeeeMode: 1
; LDSByteSize: 0 bytes/workgroup (compile time only)
; SGPRBlocks: 10
; VGPRBlocks: 3
; NumSGPRsForWavesPerEU: 82
; NumVGPRsForWavesPerEU: 13
; Occupancy: 9
; WaveLimiterHint : 1
; COMPUTE_PGM_RSRC2:SCRATCH_EN: 0
; COMPUTE_PGM_RSRC2:USER_SGPR: 6
; COMPUTE_PGM_RSRC2:TRAP_HANDLER: 0
; COMPUTE_PGM_RSRC2:TGID_X_EN: 1
; COMPUTE_PGM_RSRC2:TGID_Y_EN: 0
; COMPUTE_PGM_RSRC2:TGID_Z_EN: 0
; COMPUTE_PGM_RSRC2:TIDIG_COMP_CNT: 0
	.section	.text._ZN9rocsparseL35csrgemm_symbolic_fill_block_per_rowILj1024ELj64ELj4096ELj137ELj64EiiEEvT5_PKS1_S3_PKT4_S3_S6_S3_S6_S3_S6_PS1_21rocsparse_index_base_S8_S8_S8_bb,"axG",@progbits,_ZN9rocsparseL35csrgemm_symbolic_fill_block_per_rowILj1024ELj64ELj4096ELj137ELj64EiiEEvT5_PKS1_S3_PKT4_S3_S6_S3_S6_S3_S6_PS1_21rocsparse_index_base_S8_S8_S8_bb,comdat
	.globl	_ZN9rocsparseL35csrgemm_symbolic_fill_block_per_rowILj1024ELj64ELj4096ELj137ELj64EiiEEvT5_PKS1_S3_PKT4_S3_S6_S3_S6_S3_S6_PS1_21rocsparse_index_base_S8_S8_S8_bb ; -- Begin function _ZN9rocsparseL35csrgemm_symbolic_fill_block_per_rowILj1024ELj64ELj4096ELj137ELj64EiiEEvT5_PKS1_S3_PKT4_S3_S6_S3_S6_S3_S6_PS1_21rocsparse_index_base_S8_S8_S8_bb
	.p2align	8
	.type	_ZN9rocsparseL35csrgemm_symbolic_fill_block_per_rowILj1024ELj64ELj4096ELj137ELj64EiiEEvT5_PKS1_S3_PKT4_S3_S6_S3_S6_S3_S6_PS1_21rocsparse_index_base_S8_S8_S8_bb,@function
_ZN9rocsparseL35csrgemm_symbolic_fill_block_per_rowILj1024ELj64ELj4096ELj137ELj64EiiEEvT5_PKS1_S3_PKT4_S3_S6_S3_S6_S3_S6_PS1_21rocsparse_index_base_S8_S8_S8_bb: ; @_ZN9rocsparseL35csrgemm_symbolic_fill_block_per_rowILj1024ELj64ELj4096ELj137ELj64EiiEEvT5_PKS1_S3_PKT4_S3_S6_S3_S6_S3_S6_PS1_21rocsparse_index_base_S8_S8_S8_bb
; %bb.0:
	s_load_dwordx4 s[36:39], s[4:5], 0x48
	s_load_dwordx8 s[8:15], s[4:5], 0x28
	s_load_dword s33, s[4:5], 0x0
	s_load_dwordx8 s[16:23], s[4:5], 0x8
	v_or_b32_e32 v4, 0xfffffc00, v0
	v_lshl_add_u32 v5, v0, 2, 0
	s_mov_b64 s[0:1], 0
	s_waitcnt lgkmcnt(0)
	v_mov_b32_e32 v1, s33
	s_movk_i32 s2, 0xbff
	v_mov_b32_e32 v2, v5
	v_mov_b32_e32 v3, v4
.LBB15_1:                               ; =>This Inner Loop Header: Depth=1
	v_add_u32_e32 v3, 0x400, v3
	v_cmp_lt_u32_e32 vcc, s2, v3
	ds_write_b32 v2, v1
	s_or_b64 s[0:1], vcc, s[0:1]
	v_add_u32_e32 v2, 0x1000, v2
	s_andn2_b64 exec, exec, s[0:1]
	s_cbranch_execnz .LBB15_1
; %bb.2:
	s_or_b64 exec, exec, s[0:1]
	s_load_dword s28, s[4:5], 0x68
	s_waitcnt lgkmcnt(0)
	s_barrier
	s_load_dword s2, s[16:17], 0x0
	s_load_dwordx4 s[40:43], s[4:5], 0x58
	s_bitcmp1_b32 s28, 0
	s_cselect_b64 s[0:1], -1, 0
	s_mov_b32 s3, 0
	s_waitcnt lgkmcnt(0)
	s_add_i32 s2, s2, s6
	s_lshl_b64 s[2:3], s[2:3], 2
	s_add_u32 s2, s18, s2
	s_addc_u32 s3, s19, s3
	s_load_dword s34, s[2:3], 0x0
	v_lshrrev_b32_e32 v6, 6, v0
	s_and_b64 vcc, exec, s[0:1]
	s_cbranch_vccz .LBB15_18
; %bb.3:
	s_waitcnt lgkmcnt(0)
	s_ashr_i32 s35, s34, 31
	s_lshl_b64 s[0:1], s[34:35], 2
	s_add_u32 s0, s20, s0
	s_addc_u32 s1, s21, s1
	s_load_dwordx2 s[2:3], s[0:1], 0x0
	v_subrev_u32_e32 v1, s40, v6
	s_waitcnt lgkmcnt(0)
	s_sub_i32 s29, s3, s40
	v_add_u32_e32 v1, s2, v1
	v_cmp_gt_i32_e32 vcc, s29, v1
	s_and_saveexec_b64 s[0:1], vcc
	s_cbranch_execz .LBB15_17
; %bb.4:
	v_and_b32_e32 v2, 63, v0
	v_subrev_u32_e32 v7, s41, v2
	s_mov_b64 s[2:3], 0
	v_mov_b32_e32 v8, s23
	v_mov_b32_e32 v9, s9
	s_movk_i32 s9, 0x89
	s_branch .LBB15_6
.LBB15_5:                               ;   in Loop: Header=BB15_6 Depth=1
	s_or_b64 exec, exec, s[4:5]
	v_add_u32_e32 v1, 16, v1
	v_cmp_le_i32_e32 vcc, s29, v1
	s_or_b64 s[2:3], vcc, s[2:3]
	s_andn2_b64 exec, exec, s[2:3]
	s_cbranch_execz .LBB15_17
.LBB15_6:                               ; =>This Loop Header: Depth=1
                                        ;     Child Loop BB15_9 Depth 2
                                        ;       Child Loop BB15_12 Depth 3
	v_ashrrev_i32_e32 v2, 31, v1
	v_lshlrev_b64 v[2:3], 2, v[1:2]
	v_add_co_u32_e32 v2, vcc, s22, v2
	v_addc_co_u32_e32 v3, vcc, v8, v3, vcc
	global_load_dword v2, v[2:3], off
	s_waitcnt vmcnt(0)
	v_subrev_u32_e32 v2, s40, v2
	v_ashrrev_i32_e32 v3, 31, v2
	v_lshlrev_b64 v[2:3], 2, v[2:3]
	v_add_co_u32_e32 v2, vcc, s8, v2
	v_addc_co_u32_e32 v3, vcc, v9, v3, vcc
	global_load_dwordx2 v[2:3], v[2:3], off
	s_waitcnt vmcnt(0)
	v_subrev_u32_e32 v10, s41, v3
	v_add_u32_e32 v2, v2, v7
	v_cmp_lt_i32_e32 vcc, v2, v10
	s_and_saveexec_b64 s[4:5], vcc
	s_cbranch_execz .LBB15_5
; %bb.7:                                ;   in Loop: Header=BB15_6 Depth=1
	s_mov_b64 s[6:7], 0
	s_branch .LBB15_9
.LBB15_8:                               ;   in Loop: Header=BB15_9 Depth=2
	s_or_b64 exec, exec, s[16:17]
	v_add_u32_e32 v2, 64, v2
	v_cmp_ge_i32_e32 vcc, v2, v10
	s_or_b64 s[6:7], vcc, s[6:7]
	s_andn2_b64 exec, exec, s[6:7]
	s_cbranch_execz .LBB15_5
.LBB15_9:                               ;   Parent Loop BB15_6 Depth=1
                                        ; =>  This Loop Header: Depth=2
                                        ;       Child Loop BB15_12 Depth 3
	v_ashrrev_i32_e32 v3, 31, v2
	v_lshlrev_b64 v[11:12], 2, v[2:3]
	v_mov_b32_e32 v3, s11
	v_add_co_u32_e32 v11, vcc, s10, v11
	v_addc_co_u32_e32 v12, vcc, v3, v12, vcc
	global_load_dword v3, v[11:12], off
	s_mov_b64 s[16:17], 0
                                        ; implicit-def: $sgpr18_sgpr19
	s_waitcnt vmcnt(0)
	v_subrev_u32_e32 v3, s41, v3
	v_mul_lo_u32 v11, v3, s9
	v_and_b32_e32 v11, 0xfff, v11
	s_branch .LBB15_12
.LBB15_10:                              ;   in Loop: Header=BB15_12 Depth=3
	s_or_b64 exec, exec, s[24:25]
	s_andn2_b64 s[18:19], s[18:19], exec
	s_and_b64 s[24:25], s[26:27], exec
	s_or_b64 s[18:19], s[18:19], s[24:25]
.LBB15_11:                              ;   in Loop: Header=BB15_12 Depth=3
	s_or_b64 exec, exec, s[20:21]
	s_xor_b64 s[20:21], s[18:19], -1
	s_and_b64 s[20:21], exec, s[20:21]
	s_or_b64 s[16:17], s[20:21], s[16:17]
	s_andn2_b64 exec, exec, s[16:17]
	s_cbranch_execz .LBB15_8
.LBB15_12:                              ;   Parent Loop BB15_6 Depth=1
                                        ;     Parent Loop BB15_9 Depth=2
                                        ; =>    This Inner Loop Header: Depth=3
	v_lshl_add_u32 v12, v11, 2, 0
	ds_read_b32 v13, v12
	s_andn2_b64 s[18:19], s[18:19], exec
	s_waitcnt lgkmcnt(0)
	v_cmp_ne_u32_e32 vcc, v13, v3
	s_and_saveexec_b64 s[20:21], vcc
	s_cbranch_execz .LBB15_11
; %bb.13:                               ;   in Loop: Header=BB15_12 Depth=3
	v_cmp_ne_u32_e32 vcc, s33, v13
	s_and_saveexec_b64 s[24:25], vcc
	s_xor_b64 s[24:25], exec, s[24:25]
; %bb.14:                               ;   in Loop: Header=BB15_12 Depth=3
	v_add_u32_e32 v11, 1, v11
	v_and_b32_e32 v11, 0xfff, v11
                                        ; implicit-def: $vgpr12
; %bb.15:                               ;   in Loop: Header=BB15_12 Depth=3
	s_or_saveexec_b64 s[24:25], s[24:25]
	s_mov_b64 s[26:27], -1
	s_xor_b64 exec, exec, s[24:25]
	s_cbranch_execz .LBB15_10
; %bb.16:                               ;   in Loop: Header=BB15_12 Depth=3
	v_mov_b32_e32 v13, s33
	ds_cmpst_rtn_b32 v12, v12, v13, v3
	s_waitcnt lgkmcnt(0)
	v_cmp_ne_u32_e32 vcc, s33, v12
	s_orn2_b64 s[26:27], vcc, exec
	s_branch .LBB15_10
.LBB15_17:
	s_or_b64 exec, exec, s[0:1]
.LBB15_18:
	s_bfe_u32 s0, s28, 0x10008
	s_cmp_eq_u32 s0, 0
	s_cbranch_scc1 .LBB15_31
; %bb.19:
	s_waitcnt lgkmcnt(0)
	s_ashr_i32 s35, s34, 31
	s_lshl_b64 s[0:1], s[34:35], 2
	s_add_u32 s0, s12, s0
	s_addc_u32 s1, s13, s1
	s_load_dwordx2 s[2:3], s[0:1], 0x0
	v_subrev_u32_e32 v1, s43, v0
	s_waitcnt lgkmcnt(0)
	s_sub_i32 s16, s3, s43
	v_add_u32_e32 v1, s2, v1
	v_cmp_gt_i32_e32 vcc, s16, v1
	s_and_saveexec_b64 s[0:1], vcc
	s_cbranch_execz .LBB15_30
; %bb.20:
	s_mov_b64 s[2:3], 0
	v_mov_b32_e32 v3, s15
	s_movk_i32 s15, 0x89
	s_branch .LBB15_22
.LBB15_21:                              ;   in Loop: Header=BB15_22 Depth=1
	s_or_b64 exec, exec, s[4:5]
	v_add_u32_e32 v1, 0x400, v1
	v_cmp_le_i32_e32 vcc, s16, v1
	s_or_b64 s[2:3], vcc, s[2:3]
	s_andn2_b64 exec, exec, s[2:3]
	s_cbranch_execz .LBB15_30
.LBB15_22:                              ; =>This Loop Header: Depth=1
                                        ;     Child Loop BB15_25 Depth 2
	v_ashrrev_i32_e32 v2, 31, v1
	v_lshlrev_b64 v[7:8], 2, v[1:2]
	s_mov_b64 s[4:5], 0
	v_add_co_u32_e32 v7, vcc, s14, v7
	v_addc_co_u32_e32 v8, vcc, v3, v8, vcc
	global_load_dword v2, v[7:8], off
                                        ; implicit-def: $sgpr6_sgpr7
	s_waitcnt vmcnt(0)
	v_subrev_u32_e32 v2, s43, v2
	v_mul_lo_u32 v7, v2, s15
	v_and_b32_e32 v7, 0xfff, v7
	s_branch .LBB15_25
.LBB15_23:                              ;   in Loop: Header=BB15_25 Depth=2
	s_or_b64 exec, exec, s[10:11]
	s_andn2_b64 s[6:7], s[6:7], exec
	s_and_b64 s[10:11], s[12:13], exec
	s_or_b64 s[6:7], s[6:7], s[10:11]
.LBB15_24:                              ;   in Loop: Header=BB15_25 Depth=2
	s_or_b64 exec, exec, s[8:9]
	s_xor_b64 s[8:9], s[6:7], -1
	s_and_b64 s[8:9], exec, s[8:9]
	s_or_b64 s[4:5], s[8:9], s[4:5]
	s_andn2_b64 exec, exec, s[4:5]
	s_cbranch_execz .LBB15_21
.LBB15_25:                              ;   Parent Loop BB15_22 Depth=1
                                        ; =>  This Inner Loop Header: Depth=2
	v_lshl_add_u32 v8, v7, 2, 0
	ds_read_b32 v9, v8
	s_andn2_b64 s[6:7], s[6:7], exec
	s_waitcnt lgkmcnt(0)
	v_cmp_ne_u32_e32 vcc, v9, v2
	s_and_saveexec_b64 s[8:9], vcc
	s_cbranch_execz .LBB15_24
; %bb.26:                               ;   in Loop: Header=BB15_25 Depth=2
	v_cmp_ne_u32_e32 vcc, s33, v9
	s_and_saveexec_b64 s[10:11], vcc
	s_xor_b64 s[10:11], exec, s[10:11]
; %bb.27:                               ;   in Loop: Header=BB15_25 Depth=2
	v_add_u32_e32 v7, 1, v7
	v_and_b32_e32 v7, 0xfff, v7
                                        ; implicit-def: $vgpr8
; %bb.28:                               ;   in Loop: Header=BB15_25 Depth=2
	s_or_saveexec_b64 s[10:11], s[10:11]
	s_mov_b64 s[12:13], -1
	s_xor_b64 exec, exec, s[10:11]
	s_cbranch_execz .LBB15_23
; %bb.29:                               ;   in Loop: Header=BB15_25 Depth=2
	v_mov_b32_e32 v9, s33
	ds_cmpst_rtn_b32 v8, v8, v9, v2
	s_waitcnt lgkmcnt(0)
	v_cmp_ne_u32_e32 vcc, s33, v8
	s_orn2_b64 s[12:13], vcc, exec
	s_branch .LBB15_23
.LBB15_30:
	s_or_b64 exec, exec, s[0:1]
.LBB15_31:
	v_mbcnt_lo_u32_b32 v1, -1, 0
	v_mbcnt_hi_u32_b32 v1, -1, v1
	v_sub_u32_e32 v1, 63, v1
	v_lshrrev_b64 v[1:2], v1, -1
	s_movk_i32 s0, 0x3ff
	s_movk_i32 s2, 0x7f
	;; [unrolled: 1-line block ×15, first 2 shown]
	v_mov_b32_e32 v3, 0
	v_lshl_add_u32 v6, v6, 2, 0
	v_cmp_eq_u32_e32 vcc, s0, v0
	v_cmp_lt_u32_e64 s[0:1], 63, v0
	v_cmp_lt_u32_e64 s[2:3], s2, v0
	;; [unrolled: 1-line block ×15, first 2 shown]
	s_mov_b64 s[40:41], 0
	s_movk_i32 s35, 0xbff
	v_mov_b32_e32 v7, 0
	s_waitcnt lgkmcnt(0)
	s_barrier
	s_branch .LBB15_33
.LBB15_32:                              ;   in Loop: Header=BB15_33 Depth=1
	s_or_b64 exec, exec, s[30:31]
	s_waitcnt lgkmcnt(0)
	s_barrier
	ds_read_b32 v8, v3 offset:16444
	v_add_u32_e32 v4, 0x400, v4
	v_cmp_lt_u32_e64 s[30:31], s35, v4
	s_or_b64 s[40:41], s[30:31], s[40:41]
	v_add_u32_e32 v5, 0x1000, v5
	s_waitcnt lgkmcnt(0)
	v_add_u32_e32 v7, v8, v7
	s_andn2_b64 exec, exec, s[40:41]
	s_cbranch_execz .LBB15_67
.LBB15_33:                              ; =>This Inner Loop Header: Depth=1
	ds_read_b32 v8, v5
	s_waitcnt lgkmcnt(0)
	s_barrier
	v_cmp_gt_i32_e64 s[30:31], s33, v8
	v_and_b32_e32 v10, s30, v1
	s_bcnt1_i32_b64 s43, s[30:31]
	v_and_b32_e32 v9, s31, v2
	v_bcnt_u32_b32 v10, v10, 0
	v_bcnt_u32_b32 v9, v9, v10
	v_mov_b32_e32 v10, s43
	ds_write_b32 v6, v10 offset:16384
	s_waitcnt lgkmcnt(0)
	s_barrier
	s_and_saveexec_b64 s[44:45], s[0:1]
	s_cbranch_execnz .LBB15_50
; %bb.34:                               ;   in Loop: Header=BB15_33 Depth=1
	s_or_b64 exec, exec, s[44:45]
	s_and_saveexec_b64 s[44:45], s[2:3]
	s_cbranch_execnz .LBB15_51
.LBB15_35:                              ;   in Loop: Header=BB15_33 Depth=1
	s_or_b64 exec, exec, s[44:45]
	s_and_saveexec_b64 s[44:45], s[4:5]
	s_cbranch_execnz .LBB15_52
.LBB15_36:                              ;   in Loop: Header=BB15_33 Depth=1
	s_or_b64 exec, exec, s[44:45]
	s_and_saveexec_b64 s[44:45], s[6:7]
	s_cbranch_execnz .LBB15_53
.LBB15_37:                              ;   in Loop: Header=BB15_33 Depth=1
	s_or_b64 exec, exec, s[44:45]
	s_and_saveexec_b64 s[44:45], s[8:9]
	s_cbranch_execnz .LBB15_54
.LBB15_38:                              ;   in Loop: Header=BB15_33 Depth=1
	s_or_b64 exec, exec, s[44:45]
	s_and_saveexec_b64 s[44:45], s[10:11]
	s_cbranch_execnz .LBB15_55
.LBB15_39:                              ;   in Loop: Header=BB15_33 Depth=1
	s_or_b64 exec, exec, s[44:45]
	s_and_saveexec_b64 s[44:45], s[12:13]
	s_cbranch_execnz .LBB15_56
.LBB15_40:                              ;   in Loop: Header=BB15_33 Depth=1
	s_or_b64 exec, exec, s[44:45]
	s_and_saveexec_b64 s[44:45], s[14:15]
	s_cbranch_execnz .LBB15_57
.LBB15_41:                              ;   in Loop: Header=BB15_33 Depth=1
	s_or_b64 exec, exec, s[44:45]
	s_and_saveexec_b64 s[44:45], s[16:17]
	s_cbranch_execnz .LBB15_58
.LBB15_42:                              ;   in Loop: Header=BB15_33 Depth=1
	s_or_b64 exec, exec, s[44:45]
	s_and_saveexec_b64 s[44:45], s[18:19]
	s_cbranch_execnz .LBB15_59
.LBB15_43:                              ;   in Loop: Header=BB15_33 Depth=1
	s_or_b64 exec, exec, s[44:45]
	s_and_saveexec_b64 s[44:45], s[20:21]
	s_cbranch_execnz .LBB15_60
.LBB15_44:                              ;   in Loop: Header=BB15_33 Depth=1
	s_or_b64 exec, exec, s[44:45]
	s_and_saveexec_b64 s[44:45], s[22:23]
	s_cbranch_execnz .LBB15_61
.LBB15_45:                              ;   in Loop: Header=BB15_33 Depth=1
	s_or_b64 exec, exec, s[44:45]
	s_and_saveexec_b64 s[44:45], s[24:25]
	s_cbranch_execnz .LBB15_62
.LBB15_46:                              ;   in Loop: Header=BB15_33 Depth=1
	s_or_b64 exec, exec, s[44:45]
	s_and_saveexec_b64 s[44:45], s[26:27]
	s_cbranch_execnz .LBB15_63
.LBB15_47:                              ;   in Loop: Header=BB15_33 Depth=1
	s_or_b64 exec, exec, s[44:45]
	s_and_saveexec_b64 s[44:45], s[28:29]
	s_cbranch_execnz .LBB15_64
.LBB15_48:                              ;   in Loop: Header=BB15_33 Depth=1
	s_or_b64 exec, exec, s[44:45]
	s_and_saveexec_b64 s[44:45], s[30:31]
	s_cbranch_execnz .LBB15_65
.LBB15_49:                              ;   in Loop: Header=BB15_33 Depth=1
	s_or_b64 exec, exec, s[44:45]
	s_and_saveexec_b64 s[30:31], vcc
	s_cbranch_execz .LBB15_32
	s_branch .LBB15_66
.LBB15_50:                              ;   in Loop: Header=BB15_33 Depth=1
	ds_read_b32 v10, v3 offset:16384
	s_waitcnt lgkmcnt(0)
	v_add_u32_e32 v9, v10, v9
	s_or_b64 exec, exec, s[44:45]
	s_and_saveexec_b64 s[44:45], s[2:3]
	s_cbranch_execz .LBB15_35
.LBB15_51:                              ;   in Loop: Header=BB15_33 Depth=1
	ds_read_b32 v10, v3 offset:16388
	s_waitcnt lgkmcnt(0)
	v_add_u32_e32 v9, v10, v9
	s_or_b64 exec, exec, s[44:45]
	s_and_saveexec_b64 s[44:45], s[4:5]
	s_cbranch_execz .LBB15_36
.LBB15_52:                              ;   in Loop: Header=BB15_33 Depth=1
	ds_read_b32 v10, v3 offset:16392
	s_waitcnt lgkmcnt(0)
	v_add_u32_e32 v9, v10, v9
	s_or_b64 exec, exec, s[44:45]
	s_and_saveexec_b64 s[44:45], s[6:7]
	s_cbranch_execz .LBB15_37
.LBB15_53:                              ;   in Loop: Header=BB15_33 Depth=1
	ds_read_b32 v10, v3 offset:16396
	s_waitcnt lgkmcnt(0)
	v_add_u32_e32 v9, v10, v9
	s_or_b64 exec, exec, s[44:45]
	s_and_saveexec_b64 s[44:45], s[8:9]
	s_cbranch_execz .LBB15_38
.LBB15_54:                              ;   in Loop: Header=BB15_33 Depth=1
	ds_read_b32 v10, v3 offset:16400
	s_waitcnt lgkmcnt(0)
	v_add_u32_e32 v9, v10, v9
	s_or_b64 exec, exec, s[44:45]
	s_and_saveexec_b64 s[44:45], s[10:11]
	s_cbranch_execz .LBB15_39
.LBB15_55:                              ;   in Loop: Header=BB15_33 Depth=1
	ds_read_b32 v10, v3 offset:16404
	s_waitcnt lgkmcnt(0)
	v_add_u32_e32 v9, v10, v9
	s_or_b64 exec, exec, s[44:45]
	s_and_saveexec_b64 s[44:45], s[12:13]
	s_cbranch_execz .LBB15_40
.LBB15_56:                              ;   in Loop: Header=BB15_33 Depth=1
	ds_read_b32 v10, v3 offset:16408
	s_waitcnt lgkmcnt(0)
	v_add_u32_e32 v9, v10, v9
	s_or_b64 exec, exec, s[44:45]
	s_and_saveexec_b64 s[44:45], s[14:15]
	s_cbranch_execz .LBB15_41
.LBB15_57:                              ;   in Loop: Header=BB15_33 Depth=1
	ds_read_b32 v10, v3 offset:16412
	s_waitcnt lgkmcnt(0)
	v_add_u32_e32 v9, v10, v9
	s_or_b64 exec, exec, s[44:45]
	s_and_saveexec_b64 s[44:45], s[16:17]
	s_cbranch_execz .LBB15_42
.LBB15_58:                              ;   in Loop: Header=BB15_33 Depth=1
	ds_read_b32 v10, v3 offset:16416
	s_waitcnt lgkmcnt(0)
	v_add_u32_e32 v9, v10, v9
	s_or_b64 exec, exec, s[44:45]
	s_and_saveexec_b64 s[44:45], s[18:19]
	s_cbranch_execz .LBB15_43
.LBB15_59:                              ;   in Loop: Header=BB15_33 Depth=1
	ds_read_b32 v10, v3 offset:16420
	s_waitcnt lgkmcnt(0)
	v_add_u32_e32 v9, v10, v9
	s_or_b64 exec, exec, s[44:45]
	s_and_saveexec_b64 s[44:45], s[20:21]
	s_cbranch_execz .LBB15_44
.LBB15_60:                              ;   in Loop: Header=BB15_33 Depth=1
	ds_read_b32 v10, v3 offset:16424
	s_waitcnt lgkmcnt(0)
	v_add_u32_e32 v9, v10, v9
	s_or_b64 exec, exec, s[44:45]
	s_and_saveexec_b64 s[44:45], s[22:23]
	s_cbranch_execz .LBB15_45
.LBB15_61:                              ;   in Loop: Header=BB15_33 Depth=1
	ds_read_b32 v10, v3 offset:16428
	s_waitcnt lgkmcnt(0)
	v_add_u32_e32 v9, v10, v9
	s_or_b64 exec, exec, s[44:45]
	s_and_saveexec_b64 s[44:45], s[24:25]
	s_cbranch_execz .LBB15_46
.LBB15_62:                              ;   in Loop: Header=BB15_33 Depth=1
	ds_read_b32 v10, v3 offset:16432
	s_waitcnt lgkmcnt(0)
	v_add_u32_e32 v9, v10, v9
	s_or_b64 exec, exec, s[44:45]
	s_and_saveexec_b64 s[44:45], s[26:27]
	s_cbranch_execz .LBB15_47
.LBB15_63:                              ;   in Loop: Header=BB15_33 Depth=1
	ds_read_b32 v10, v3 offset:16436
	s_waitcnt lgkmcnt(0)
	v_add_u32_e32 v9, v10, v9
	s_or_b64 exec, exec, s[44:45]
	s_and_saveexec_b64 s[44:45], s[28:29]
	s_cbranch_execz .LBB15_48
.LBB15_64:                              ;   in Loop: Header=BB15_33 Depth=1
	ds_read_b32 v10, v3 offset:16440
	s_waitcnt lgkmcnt(0)
	v_add_u32_e32 v9, v10, v9
	s_or_b64 exec, exec, s[44:45]
	s_and_saveexec_b64 s[44:45], s[30:31]
	s_cbranch_execz .LBB15_49
.LBB15_65:                              ;   in Loop: Header=BB15_33 Depth=1
	v_lshlrev_b32_e32 v10, 2, v7
	v_add_u32_e32 v10, 0, v10
	v_lshlrev_b32_e32 v11, 2, v9
	v_add3_u32 v10, v10, v11, -4
	ds_write_b32 v10, v8
	s_or_b64 exec, exec, s[44:45]
	s_and_saveexec_b64 s[30:31], vcc
	s_cbranch_execz .LBB15_32
.LBB15_66:                              ;   in Loop: Header=BB15_33 Depth=1
	ds_write_b32 v3, v9 offset:16444
	s_branch .LBB15_32
.LBB15_67:
	s_or_b64 exec, exec, s[40:41]
	s_ashr_i32 s35, s34, 31
	s_lshl_b64 s[0:1], s[34:35], 2
	s_add_u32 s2, s36, s0
	s_addc_u32 s3, s37, s1
	s_load_dwordx2 s[0:1], s[2:3], 0x0
	s_waitcnt lgkmcnt(0)
	s_sub_i32 s6, s1, s0
	v_cmp_gt_i32_e32 vcc, s6, v0
	s_and_saveexec_b64 s[2:3], vcc
	s_cbranch_execz .LBB15_77
; %bb.68:
	s_sub_i32 s7, s0, s42
	s_and_b32 s8, s6, 7
	s_sub_i32 s0, s0, s1
	s_cmp_lt_u32 s0, -7
	s_cselect_b64 s[0:1], -1, 0
	s_and_b32 s9, s6, -8
	s_cmp_lg_u32 s8, 0
	v_cndmask_b32_e64 v1, 0, 1, s[0:1]
	s_cselect_b64 s[2:3], -1, 0
	v_cmp_ne_u32_e64 s[0:1], 1, v1
	v_cndmask_b32_e64 v1, 0, 1, s[2:3]
	s_mov_b64 s[4:5], 0
	v_cmp_ne_u32_e64 s[2:3], 1, v1
	v_mov_b32_e32 v3, s39
	s_branch .LBB15_70
.LBB15_69:                              ;   in Loop: Header=BB15_70 Depth=1
	s_waitcnt lgkmcnt(0)
	v_add_u32_e32 v4, s42, v2
	v_ashrrev_i32_e32 v2, 31, v1
	v_lshlrev_b64 v[1:2], 2, v[1:2]
	v_add_u32_e32 v0, 0x400, v0
	v_add_co_u32_e32 v1, vcc, s38, v1
	v_addc_co_u32_e32 v2, vcc, v3, v2, vcc
	v_cmp_le_i32_e32 vcc, s6, v0
	s_or_b64 s[4:5], vcc, s[4:5]
	global_store_dword v[1:2], v4, off
	s_andn2_b64 exec, exec, s[4:5]
	s_cbranch_execz .LBB15_77
.LBB15_70:                              ; =>This Loop Header: Depth=1
                                        ;     Child Loop BB15_72 Depth 2
                                        ;     Child Loop BB15_76 Depth 2
	v_lshl_add_u32 v1, v0, 2, 0
	ds_read_b32 v2, v1
	s_and_b64 vcc, exec, s[0:1]
	v_mov_b32_e32 v1, s7
	s_mov_b32 s10, 0
	s_cbranch_vccnz .LBB15_74
; %bb.71:                               ;   in Loop: Header=BB15_70 Depth=1
	s_mov_b32 s11, 0
	v_mov_b32_e32 v1, s7
.LBB15_72:                              ;   Parent Loop BB15_70 Depth=1
                                        ; =>  This Inner Loop Header: Depth=2
	v_mov_b32_e32 v10, s11
	ds_read2_b32 v[4:5], v10 offset1:1
	ds_read2_b32 v[6:7], v10 offset0:2 offset1:3
	ds_read2_b32 v[8:9], v10 offset0:4 offset1:5
	;; [unrolled: 1-line block ×3, first 2 shown]
	s_add_i32 s10, s10, 8
	s_waitcnt lgkmcnt(3)
	v_cmp_gt_i32_e32 vcc, v2, v4
	v_cndmask_b32_e64 v4, 0, 1, vcc
	s_waitcnt lgkmcnt(2)
	v_cmp_gt_i32_e32 vcc, v2, v6
	v_cndmask_b32_e64 v6, 0, 1, vcc
	;; [unrolled: 3-line block ×4, first 2 shown]
	v_cmp_gt_i32_e32 vcc, v2, v5
	v_addc_co_u32_e32 v1, vcc, v1, v4, vcc
	v_cmp_gt_i32_e32 vcc, v2, v7
	v_addc_co_u32_e32 v1, vcc, v1, v6, vcc
	;; [unrolled: 2-line block ×3, first 2 shown]
	s_add_i32 s11, s11, 32
	v_cmp_gt_i32_e32 vcc, v2, v11
	s_cmp_eq_u32 s9, s10
	v_addc_co_u32_e32 v1, vcc, v1, v10, vcc
	s_cbranch_scc0 .LBB15_72
; %bb.73:                               ;   in Loop: Header=BB15_70 Depth=1
	s_mov_b32 s10, s9
.LBB15_74:                              ;   in Loop: Header=BB15_70 Depth=1
	s_and_b64 vcc, exec, s[2:3]
	s_cbranch_vccnz .LBB15_69
; %bb.75:                               ;   in Loop: Header=BB15_70 Depth=1
	s_lshl_b32 s10, s10, 2
	s_add_i32 s10, s10, 0
	s_mov_b32 s11, s8
.LBB15_76:                              ;   Parent Loop BB15_70 Depth=1
                                        ; =>  This Inner Loop Header: Depth=2
	v_mov_b32_e32 v4, s10
	ds_read_b32 v4, v4
	s_add_i32 s10, s10, 4
	s_add_i32 s11, s11, -1
	s_cmp_lg_u32 s11, 0
	s_waitcnt lgkmcnt(0)
	v_cmp_gt_i32_e32 vcc, v2, v4
	v_addc_co_u32_e32 v1, vcc, 0, v1, vcc
	s_cbranch_scc1 .LBB15_76
	s_branch .LBB15_69
.LBB15_77:
	s_endpgm
	.section	.rodata,"a",@progbits
	.p2align	6, 0x0
	.amdhsa_kernel _ZN9rocsparseL35csrgemm_symbolic_fill_block_per_rowILj1024ELj64ELj4096ELj137ELj64EiiEEvT5_PKS1_S3_PKT4_S3_S6_S3_S6_S3_S6_PS1_21rocsparse_index_base_S8_S8_S8_bb
		.amdhsa_group_segment_fixed_size 0
		.amdhsa_private_segment_fixed_size 0
		.amdhsa_kernarg_size 108
		.amdhsa_user_sgpr_count 6
		.amdhsa_user_sgpr_private_segment_buffer 1
		.amdhsa_user_sgpr_dispatch_ptr 0
		.amdhsa_user_sgpr_queue_ptr 0
		.amdhsa_user_sgpr_kernarg_segment_ptr 1
		.amdhsa_user_sgpr_dispatch_id 0
		.amdhsa_user_sgpr_flat_scratch_init 0
		.amdhsa_user_sgpr_private_segment_size 0
		.amdhsa_uses_dynamic_stack 0
		.amdhsa_system_sgpr_private_segment_wavefront_offset 0
		.amdhsa_system_sgpr_workgroup_id_x 1
		.amdhsa_system_sgpr_workgroup_id_y 0
		.amdhsa_system_sgpr_workgroup_id_z 0
		.amdhsa_system_sgpr_workgroup_info 0
		.amdhsa_system_vgpr_workitem_id 0
		.amdhsa_next_free_vgpr 14
		.amdhsa_next_free_sgpr 46
		.amdhsa_reserve_vcc 1
		.amdhsa_reserve_flat_scratch 0
		.amdhsa_float_round_mode_32 0
		.amdhsa_float_round_mode_16_64 0
		.amdhsa_float_denorm_mode_32 3
		.amdhsa_float_denorm_mode_16_64 3
		.amdhsa_dx10_clamp 1
		.amdhsa_ieee_mode 1
		.amdhsa_fp16_overflow 0
		.amdhsa_exception_fp_ieee_invalid_op 0
		.amdhsa_exception_fp_denorm_src 0
		.amdhsa_exception_fp_ieee_div_zero 0
		.amdhsa_exception_fp_ieee_overflow 0
		.amdhsa_exception_fp_ieee_underflow 0
		.amdhsa_exception_fp_ieee_inexact 0
		.amdhsa_exception_int_div_zero 0
	.end_amdhsa_kernel
	.section	.text._ZN9rocsparseL35csrgemm_symbolic_fill_block_per_rowILj1024ELj64ELj4096ELj137ELj64EiiEEvT5_PKS1_S3_PKT4_S3_S6_S3_S6_S3_S6_PS1_21rocsparse_index_base_S8_S8_S8_bb,"axG",@progbits,_ZN9rocsparseL35csrgemm_symbolic_fill_block_per_rowILj1024ELj64ELj4096ELj137ELj64EiiEEvT5_PKS1_S3_PKT4_S3_S6_S3_S6_S3_S6_PS1_21rocsparse_index_base_S8_S8_S8_bb,comdat
.Lfunc_end15:
	.size	_ZN9rocsparseL35csrgemm_symbolic_fill_block_per_rowILj1024ELj64ELj4096ELj137ELj64EiiEEvT5_PKS1_S3_PKT4_S3_S6_S3_S6_S3_S6_PS1_21rocsparse_index_base_S8_S8_S8_bb, .Lfunc_end15-_ZN9rocsparseL35csrgemm_symbolic_fill_block_per_rowILj1024ELj64ELj4096ELj137ELj64EiiEEvT5_PKS1_S3_PKT4_S3_S6_S3_S6_S3_S6_PS1_21rocsparse_index_base_S8_S8_S8_bb
                                        ; -- End function
	.set _ZN9rocsparseL35csrgemm_symbolic_fill_block_per_rowILj1024ELj64ELj4096ELj137ELj64EiiEEvT5_PKS1_S3_PKT4_S3_S6_S3_S6_S3_S6_PS1_21rocsparse_index_base_S8_S8_S8_bb.num_vgpr, 14
	.set _ZN9rocsparseL35csrgemm_symbolic_fill_block_per_rowILj1024ELj64ELj4096ELj137ELj64EiiEEvT5_PKS1_S3_PKT4_S3_S6_S3_S6_S3_S6_PS1_21rocsparse_index_base_S8_S8_S8_bb.num_agpr, 0
	.set _ZN9rocsparseL35csrgemm_symbolic_fill_block_per_rowILj1024ELj64ELj4096ELj137ELj64EiiEEvT5_PKS1_S3_PKT4_S3_S6_S3_S6_S3_S6_PS1_21rocsparse_index_base_S8_S8_S8_bb.numbered_sgpr, 46
	.set _ZN9rocsparseL35csrgemm_symbolic_fill_block_per_rowILj1024ELj64ELj4096ELj137ELj64EiiEEvT5_PKS1_S3_PKT4_S3_S6_S3_S6_S3_S6_PS1_21rocsparse_index_base_S8_S8_S8_bb.num_named_barrier, 0
	.set _ZN9rocsparseL35csrgemm_symbolic_fill_block_per_rowILj1024ELj64ELj4096ELj137ELj64EiiEEvT5_PKS1_S3_PKT4_S3_S6_S3_S6_S3_S6_PS1_21rocsparse_index_base_S8_S8_S8_bb.private_seg_size, 0
	.set _ZN9rocsparseL35csrgemm_symbolic_fill_block_per_rowILj1024ELj64ELj4096ELj137ELj64EiiEEvT5_PKS1_S3_PKT4_S3_S6_S3_S6_S3_S6_PS1_21rocsparse_index_base_S8_S8_S8_bb.uses_vcc, 1
	.set _ZN9rocsparseL35csrgemm_symbolic_fill_block_per_rowILj1024ELj64ELj4096ELj137ELj64EiiEEvT5_PKS1_S3_PKT4_S3_S6_S3_S6_S3_S6_PS1_21rocsparse_index_base_S8_S8_S8_bb.uses_flat_scratch, 0
	.set _ZN9rocsparseL35csrgemm_symbolic_fill_block_per_rowILj1024ELj64ELj4096ELj137ELj64EiiEEvT5_PKS1_S3_PKT4_S3_S6_S3_S6_S3_S6_PS1_21rocsparse_index_base_S8_S8_S8_bb.has_dyn_sized_stack, 0
	.set _ZN9rocsparseL35csrgemm_symbolic_fill_block_per_rowILj1024ELj64ELj4096ELj137ELj64EiiEEvT5_PKS1_S3_PKT4_S3_S6_S3_S6_S3_S6_PS1_21rocsparse_index_base_S8_S8_S8_bb.has_recursion, 0
	.set _ZN9rocsparseL35csrgemm_symbolic_fill_block_per_rowILj1024ELj64ELj4096ELj137ELj64EiiEEvT5_PKS1_S3_PKT4_S3_S6_S3_S6_S3_S6_PS1_21rocsparse_index_base_S8_S8_S8_bb.has_indirect_call, 0
	.section	.AMDGPU.csdata,"",@progbits
; Kernel info:
; codeLenInByte = 2468
; TotalNumSgprs: 50
; NumVgprs: 14
; ScratchSize: 0
; MemoryBound: 0
; FloatMode: 240
; IeeeMode: 1
; LDSByteSize: 0 bytes/workgroup (compile time only)
; SGPRBlocks: 6
; VGPRBlocks: 3
; NumSGPRsForWavesPerEU: 50
; NumVGPRsForWavesPerEU: 14
; Occupancy: 10
; WaveLimiterHint : 1
; COMPUTE_PGM_RSRC2:SCRATCH_EN: 0
; COMPUTE_PGM_RSRC2:USER_SGPR: 6
; COMPUTE_PGM_RSRC2:TRAP_HANDLER: 0
; COMPUTE_PGM_RSRC2:TGID_X_EN: 1
; COMPUTE_PGM_RSRC2:TGID_Y_EN: 0
; COMPUTE_PGM_RSRC2:TGID_Z_EN: 0
; COMPUTE_PGM_RSRC2:TIDIG_COMP_CNT: 0
	.section	.text._ZN9rocsparseL35csrgemm_symbolic_fill_block_per_rowILj1024ELj64ELj8192ELj137ELj32EiiEEvT5_PKS1_S3_PKT4_S3_S6_S3_S6_S3_S6_PS1_21rocsparse_index_base_S8_S8_S8_bb,"axG",@progbits,_ZN9rocsparseL35csrgemm_symbolic_fill_block_per_rowILj1024ELj64ELj8192ELj137ELj32EiiEEvT5_PKS1_S3_PKT4_S3_S6_S3_S6_S3_S6_PS1_21rocsparse_index_base_S8_S8_S8_bb,comdat
	.globl	_ZN9rocsparseL35csrgemm_symbolic_fill_block_per_rowILj1024ELj64ELj8192ELj137ELj32EiiEEvT5_PKS1_S3_PKT4_S3_S6_S3_S6_S3_S6_PS1_21rocsparse_index_base_S8_S8_S8_bb ; -- Begin function _ZN9rocsparseL35csrgemm_symbolic_fill_block_per_rowILj1024ELj64ELj8192ELj137ELj32EiiEEvT5_PKS1_S3_PKT4_S3_S6_S3_S6_S3_S6_PS1_21rocsparse_index_base_S8_S8_S8_bb
	.p2align	8
	.type	_ZN9rocsparseL35csrgemm_symbolic_fill_block_per_rowILj1024ELj64ELj8192ELj137ELj32EiiEEvT5_PKS1_S3_PKT4_S3_S6_S3_S6_S3_S6_PS1_21rocsparse_index_base_S8_S8_S8_bb,@function
_ZN9rocsparseL35csrgemm_symbolic_fill_block_per_rowILj1024ELj64ELj8192ELj137ELj32EiiEEvT5_PKS1_S3_PKT4_S3_S6_S3_S6_S3_S6_PS1_21rocsparse_index_base_S8_S8_S8_bb: ; @_ZN9rocsparseL35csrgemm_symbolic_fill_block_per_rowILj1024ELj64ELj8192ELj137ELj32EiiEEvT5_PKS1_S3_PKT4_S3_S6_S3_S6_S3_S6_PS1_21rocsparse_index_base_S8_S8_S8_bb
; %bb.0:
	s_load_dword s33, s[4:5], 0x0
	s_load_dwordx4 s[0:3], s[4:5], 0x8
	v_lshl_add_u32 v4, v0, 2, 0
	s_waitcnt lgkmcnt(0)
	v_mov_b32_e32 v1, s33
	v_mov_b32_e32 v2, s33
	ds_write2st64_b32 v4, v1, v2 offset1:16
	ds_write2st64_b32 v4, v1, v2 offset0:32 offset1:48
	ds_write2st64_b32 v4, v1, v2 offset0:64 offset1:80
	;; [unrolled: 1-line block ×3, first 2 shown]
	s_waitcnt lgkmcnt(0)
	s_barrier
	s_load_dword s7, s[0:1], 0x0
	s_load_dword s26, s[4:5], 0x68
	s_load_dwordx4 s[64:67], s[4:5], 0x58
	s_mov_b32 s1, 0
	s_waitcnt lgkmcnt(0)
	s_add_i32 s0, s7, s6
	s_lshl_b64 s[0:1], s[0:1], 2
	s_add_u32 s0, s2, s0
	s_addc_u32 s1, s3, s1
	s_load_dword s72, s[0:1], 0x0
	s_bitcmp0_b32 s26, 0
	s_cbranch_scc1 .LBB16_16
; %bb.1:
	s_load_dwordx2 s[0:1], s[4:5], 0x18
	s_waitcnt lgkmcnt(0)
	s_ashr_i32 s73, s72, 31
	s_lshl_b64 s[2:3], s[72:73], 2
	v_lshrrev_b32_e32 v1, 6, v0
	v_subrev_u32_e32 v1, s64, v1
	s_add_u32 s0, s0, s2
	s_addc_u32 s1, s1, s3
	s_load_dwordx2 s[2:3], s[0:1], 0x0
	s_waitcnt lgkmcnt(0)
	s_sub_i32 s27, s3, s64
	v_add_u32_e32 v1, s2, v1
	v_cmp_gt_i32_e32 vcc, s27, v1
	s_and_saveexec_b64 s[6:7], vcc
	s_cbranch_execz .LBB16_15
; %bb.2:
	s_load_dwordx4 s[0:3], s[4:5], 0x20
	s_load_dwordx2 s[8:9], s[4:5], 0x30
	v_and_b32_e32 v2, 63, v0
	s_mov_b64 s[10:11], 0
	v_subrev_u32_e32 v5, s65, v2
	s_waitcnt lgkmcnt(0)
	v_mov_b32_e32 v6, s1
	v_mov_b32_e32 v7, s3
	s_movk_i32 s1, 0x89
	s_branch .LBB16_4
.LBB16_3:                               ;   in Loop: Header=BB16_4 Depth=1
	s_or_b64 exec, exec, s[12:13]
	v_add_u32_e32 v1, 16, v1
	v_cmp_le_i32_e32 vcc, s27, v1
	s_or_b64 s[10:11], vcc, s[10:11]
	s_andn2_b64 exec, exec, s[10:11]
	s_cbranch_execz .LBB16_15
.LBB16_4:                               ; =>This Loop Header: Depth=1
                                        ;     Child Loop BB16_7 Depth 2
                                        ;       Child Loop BB16_10 Depth 3
	v_ashrrev_i32_e32 v2, 31, v1
	v_lshlrev_b64 v[2:3], 2, v[1:2]
	v_add_co_u32_e32 v2, vcc, s0, v2
	v_addc_co_u32_e32 v3, vcc, v6, v3, vcc
	global_load_dword v2, v[2:3], off
	s_waitcnt vmcnt(0)
	v_subrev_u32_e32 v2, s64, v2
	v_ashrrev_i32_e32 v3, 31, v2
	v_lshlrev_b64 v[2:3], 2, v[2:3]
	v_add_co_u32_e32 v2, vcc, s2, v2
	v_addc_co_u32_e32 v3, vcc, v7, v3, vcc
	global_load_dwordx2 v[2:3], v[2:3], off
	s_waitcnt vmcnt(0)
	v_subrev_u32_e32 v8, s65, v3
	v_add_u32_e32 v2, v2, v5
	v_cmp_lt_i32_e32 vcc, v2, v8
	s_and_saveexec_b64 s[12:13], vcc
	s_cbranch_execz .LBB16_3
; %bb.5:                                ;   in Loop: Header=BB16_4 Depth=1
	s_mov_b64 s[14:15], 0
	s_branch .LBB16_7
.LBB16_6:                               ;   in Loop: Header=BB16_7 Depth=2
	s_or_b64 exec, exec, s[16:17]
	v_add_u32_e32 v2, 64, v2
	v_cmp_ge_i32_e32 vcc, v2, v8
	s_or_b64 s[14:15], vcc, s[14:15]
	s_andn2_b64 exec, exec, s[14:15]
	s_cbranch_execz .LBB16_3
.LBB16_7:                               ;   Parent Loop BB16_4 Depth=1
                                        ; =>  This Loop Header: Depth=2
                                        ;       Child Loop BB16_10 Depth 3
	v_ashrrev_i32_e32 v3, 31, v2
	v_lshlrev_b64 v[9:10], 2, v[2:3]
	v_mov_b32_e32 v3, s9
	v_add_co_u32_e32 v9, vcc, s8, v9
	v_addc_co_u32_e32 v10, vcc, v3, v10, vcc
	global_load_dword v3, v[9:10], off
	s_mov_b64 s[16:17], 0
                                        ; implicit-def: $sgpr18_sgpr19
	s_waitcnt vmcnt(0)
	v_subrev_u32_e32 v3, s65, v3
	v_mul_lo_u32 v9, v3, s1
	v_and_b32_e32 v9, 0x1fff, v9
	s_branch .LBB16_10
.LBB16_8:                               ;   in Loop: Header=BB16_10 Depth=3
	s_or_b64 exec, exec, s[22:23]
	s_andn2_b64 s[18:19], s[18:19], exec
	s_and_b64 s[22:23], s[24:25], exec
	s_or_b64 s[18:19], s[18:19], s[22:23]
.LBB16_9:                               ;   in Loop: Header=BB16_10 Depth=3
	s_or_b64 exec, exec, s[20:21]
	s_xor_b64 s[20:21], s[18:19], -1
	s_and_b64 s[20:21], exec, s[20:21]
	s_or_b64 s[16:17], s[20:21], s[16:17]
	s_andn2_b64 exec, exec, s[16:17]
	s_cbranch_execz .LBB16_6
.LBB16_10:                              ;   Parent Loop BB16_4 Depth=1
                                        ;     Parent Loop BB16_7 Depth=2
                                        ; =>    This Inner Loop Header: Depth=3
	v_lshl_add_u32 v10, v9, 2, 0
	ds_read_b32 v11, v10
	s_andn2_b64 s[18:19], s[18:19], exec
	s_waitcnt lgkmcnt(0)
	v_cmp_ne_u32_e32 vcc, v11, v3
	s_and_saveexec_b64 s[20:21], vcc
	s_cbranch_execz .LBB16_9
; %bb.11:                               ;   in Loop: Header=BB16_10 Depth=3
	v_cmp_ne_u32_e32 vcc, s33, v11
	s_and_saveexec_b64 s[22:23], vcc
	s_xor_b64 s[22:23], exec, s[22:23]
; %bb.12:                               ;   in Loop: Header=BB16_10 Depth=3
	v_add_u32_e32 v9, 1, v9
	v_and_b32_e32 v9, 0x1fff, v9
                                        ; implicit-def: $vgpr10
; %bb.13:                               ;   in Loop: Header=BB16_10 Depth=3
	s_or_saveexec_b64 s[22:23], s[22:23]
	s_mov_b64 s[24:25], -1
	s_xor_b64 exec, exec, s[22:23]
	s_cbranch_execz .LBB16_8
; %bb.14:                               ;   in Loop: Header=BB16_10 Depth=3
	v_mov_b32_e32 v11, s33
	ds_cmpst_rtn_b32 v10, v10, v11, v3
	s_waitcnt lgkmcnt(0)
	v_cmp_ne_u32_e32 vcc, s33, v10
	s_orn2_b64 s[24:25], vcc, exec
	s_branch .LBB16_8
.LBB16_15:
	s_or_b64 exec, exec, s[6:7]
.LBB16_16:
	s_load_dwordx4 s[68:71], s[4:5], 0x48
	s_bfe_u32 s0, s26, 0x10008
	s_cmp_eq_u32 s0, 0
	s_cbranch_scc1 .LBB16_29
; %bb.17:
	s_load_dwordx2 s[0:1], s[4:5], 0x38
	s_waitcnt lgkmcnt(0)
	s_ashr_i32 s73, s72, 31
	s_lshl_b64 s[2:3], s[72:73], 2
	v_subrev_u32_e32 v1, s67, v0
	s_add_u32 s0, s0, s2
	s_addc_u32 s1, s1, s3
	s_load_dwordx2 s[2:3], s[0:1], 0x0
	s_waitcnt lgkmcnt(0)
	s_sub_i32 s16, s3, s67
	v_add_u32_e32 v1, s2, v1
	v_cmp_gt_i32_e32 vcc, s16, v1
	s_and_saveexec_b64 s[0:1], vcc
	s_cbranch_execz .LBB16_28
; %bb.18:
	s_load_dwordx2 s[2:3], s[4:5], 0x40
	s_mov_b64 s[4:5], 0
	s_waitcnt lgkmcnt(0)
	v_mov_b32_e32 v3, s3
	s_movk_i32 s3, 0x89
	s_branch .LBB16_20
.LBB16_19:                              ;   in Loop: Header=BB16_20 Depth=1
	s_or_b64 exec, exec, s[6:7]
	v_add_u32_e32 v1, 0x400, v1
	v_cmp_le_i32_e32 vcc, s16, v1
	s_or_b64 s[4:5], vcc, s[4:5]
	s_andn2_b64 exec, exec, s[4:5]
	s_cbranch_execz .LBB16_28
.LBB16_20:                              ; =>This Loop Header: Depth=1
                                        ;     Child Loop BB16_23 Depth 2
	v_ashrrev_i32_e32 v2, 31, v1
	v_lshlrev_b64 v[5:6], 2, v[1:2]
	s_mov_b64 s[6:7], 0
	v_add_co_u32_e32 v5, vcc, s2, v5
	v_addc_co_u32_e32 v6, vcc, v3, v6, vcc
	global_load_dword v2, v[5:6], off
                                        ; implicit-def: $sgpr8_sgpr9
	s_waitcnt vmcnt(0)
	v_subrev_u32_e32 v2, s67, v2
	v_mul_lo_u32 v5, v2, s3
	v_and_b32_e32 v5, 0x1fff, v5
	s_branch .LBB16_23
.LBB16_21:                              ;   in Loop: Header=BB16_23 Depth=2
	s_or_b64 exec, exec, s[12:13]
	s_andn2_b64 s[8:9], s[8:9], exec
	s_and_b64 s[12:13], s[14:15], exec
	s_or_b64 s[8:9], s[8:9], s[12:13]
.LBB16_22:                              ;   in Loop: Header=BB16_23 Depth=2
	s_or_b64 exec, exec, s[10:11]
	s_xor_b64 s[10:11], s[8:9], -1
	s_and_b64 s[10:11], exec, s[10:11]
	s_or_b64 s[6:7], s[10:11], s[6:7]
	s_andn2_b64 exec, exec, s[6:7]
	s_cbranch_execz .LBB16_19
.LBB16_23:                              ;   Parent Loop BB16_20 Depth=1
                                        ; =>  This Inner Loop Header: Depth=2
	v_lshl_add_u32 v6, v5, 2, 0
	ds_read_b32 v7, v6
	s_andn2_b64 s[8:9], s[8:9], exec
	s_waitcnt lgkmcnt(0)
	v_cmp_ne_u32_e32 vcc, v7, v2
	s_and_saveexec_b64 s[10:11], vcc
	s_cbranch_execz .LBB16_22
; %bb.24:                               ;   in Loop: Header=BB16_23 Depth=2
	v_cmp_ne_u32_e32 vcc, s33, v7
	s_and_saveexec_b64 s[12:13], vcc
	s_xor_b64 s[12:13], exec, s[12:13]
; %bb.25:                               ;   in Loop: Header=BB16_23 Depth=2
	v_add_u32_e32 v5, 1, v5
	v_and_b32_e32 v5, 0x1fff, v5
                                        ; implicit-def: $vgpr6
; %bb.26:                               ;   in Loop: Header=BB16_23 Depth=2
	s_or_saveexec_b64 s[12:13], s[12:13]
	s_mov_b64 s[14:15], -1
	s_xor_b64 exec, exec, s[12:13]
	s_cbranch_execz .LBB16_21
; %bb.27:                               ;   in Loop: Header=BB16_23 Depth=2
	v_mov_b32_e32 v7, s33
	ds_cmpst_rtn_b32 v6, v6, v7, v2
	s_waitcnt lgkmcnt(0)
	v_cmp_ne_u32_e32 vcc, s33, v6
	s_orn2_b64 s[14:15], vcc, exec
	s_branch .LBB16_21
.LBB16_28:
	s_or_b64 exec, exec, s[0:1]
.LBB16_29:
	v_mbcnt_lo_u32_b32 v1, -1, 0
	v_mbcnt_hi_u32_b32 v1, -1, v1
	v_sub_u32_e32 v1, 63, v1
	v_lshrrev_b32_e32 v5, 3, v0
	s_movk_i32 s0, 0x3ff
	v_lshrrev_b64 v[1:2], v1, -1
	v_and_b32_e32 v5, 0x7c, v5
	v_cmp_eq_u32_e32 vcc, s0, v0
	s_movk_i32 s0, 0x5f
	s_movk_i32 s2, 0x7f
	;; [unrolled: 1-line block ×29, first 2 shown]
	v_mov_b32_e32 v3, 0
	v_add_u32_e32 v5, 0, v5
	v_cmp_lt_u32_e64 s[0:1], s0, v0
	v_cmp_lt_u32_e64 s[2:3], s2, v0
	;; [unrolled: 1-line block ×29, first 2 shown]
	v_or_b32_e32 v6, 0xfffffc00, v0
	v_mov_b32_e32 v7, 0
	s_movk_i32 s67, 0x1bff
	v_cmp_lt_u32_e64 s[60:61], 31, v0
	v_cmp_lt_u32_e64 s[62:63], 63, v0
	s_mov_b64 s[74:75], 0
	s_waitcnt lgkmcnt(0)
	s_barrier
	s_branch .LBB16_31
.LBB16_30:                              ;   in Loop: Header=BB16_31 Depth=1
	s_or_b64 exec, exec, s[64:65]
	s_waitcnt lgkmcnt(0)
	s_barrier
	ds_read_b32 v8, v3 offset:32892
	v_add_u32_e32 v6, 0x400, v6
	v_cmp_lt_u32_e64 s[64:65], s67, v6
	s_or_b64 s[74:75], s[64:65], s[74:75]
	v_add_u32_e32 v4, 0x1000, v4
	s_waitcnt lgkmcnt(0)
	v_add_u32_e32 v7, v8, v7
	s_andn2_b64 exec, exec, s[74:75]
	s_cbranch_execz .LBB16_97
.LBB16_31:                              ; =>This Inner Loop Header: Depth=1
	ds_read_b32 v8, v4
	s_waitcnt lgkmcnt(0)
	s_barrier
	v_cmp_gt_i32_e64 s[64:65], s33, v8
	v_and_b32_e32 v10, s64, v1
	s_bcnt1_i32_b64 s73, s[64:65]
	v_and_b32_e32 v9, s65, v2
	v_bcnt_u32_b32 v10, v10, 0
	v_bcnt_u32_b32 v9, v9, v10
	v_mov_b32_e32 v10, s73
	ds_write_b32 v5, v10 offset:32768
	s_waitcnt lgkmcnt(0)
	s_barrier
	s_and_saveexec_b64 s[76:77], s[60:61]
	s_cbranch_execnz .LBB16_64
; %bb.32:                               ;   in Loop: Header=BB16_31 Depth=1
	s_or_b64 exec, exec, s[76:77]
	s_and_saveexec_b64 s[76:77], s[62:63]
	s_cbranch_execnz .LBB16_65
.LBB16_33:                              ;   in Loop: Header=BB16_31 Depth=1
	s_or_b64 exec, exec, s[76:77]
	s_and_saveexec_b64 s[76:77], s[0:1]
	s_cbranch_execnz .LBB16_66
.LBB16_34:                              ;   in Loop: Header=BB16_31 Depth=1
	s_or_b64 exec, exec, s[76:77]
	s_and_saveexec_b64 s[76:77], s[2:3]
	s_cbranch_execnz .LBB16_67
.LBB16_35:                              ;   in Loop: Header=BB16_31 Depth=1
	s_or_b64 exec, exec, s[76:77]
	s_and_saveexec_b64 s[76:77], s[4:5]
	s_cbranch_execnz .LBB16_68
.LBB16_36:                              ;   in Loop: Header=BB16_31 Depth=1
	s_or_b64 exec, exec, s[76:77]
	s_and_saveexec_b64 s[76:77], s[6:7]
	s_cbranch_execnz .LBB16_69
.LBB16_37:                              ;   in Loop: Header=BB16_31 Depth=1
	s_or_b64 exec, exec, s[76:77]
	s_and_saveexec_b64 s[76:77], s[8:9]
	s_cbranch_execnz .LBB16_70
.LBB16_38:                              ;   in Loop: Header=BB16_31 Depth=1
	s_or_b64 exec, exec, s[76:77]
	s_and_saveexec_b64 s[76:77], s[10:11]
	s_cbranch_execnz .LBB16_71
.LBB16_39:                              ;   in Loop: Header=BB16_31 Depth=1
	s_or_b64 exec, exec, s[76:77]
	s_and_saveexec_b64 s[76:77], s[12:13]
	s_cbranch_execnz .LBB16_72
.LBB16_40:                              ;   in Loop: Header=BB16_31 Depth=1
	s_or_b64 exec, exec, s[76:77]
	s_and_saveexec_b64 s[76:77], s[14:15]
	s_cbranch_execnz .LBB16_73
.LBB16_41:                              ;   in Loop: Header=BB16_31 Depth=1
	s_or_b64 exec, exec, s[76:77]
	s_and_saveexec_b64 s[76:77], s[16:17]
	s_cbranch_execnz .LBB16_74
.LBB16_42:                              ;   in Loop: Header=BB16_31 Depth=1
	s_or_b64 exec, exec, s[76:77]
	s_and_saveexec_b64 s[76:77], s[18:19]
	s_cbranch_execnz .LBB16_75
.LBB16_43:                              ;   in Loop: Header=BB16_31 Depth=1
	s_or_b64 exec, exec, s[76:77]
	s_and_saveexec_b64 s[76:77], s[20:21]
	s_cbranch_execnz .LBB16_76
.LBB16_44:                              ;   in Loop: Header=BB16_31 Depth=1
	s_or_b64 exec, exec, s[76:77]
	s_and_saveexec_b64 s[76:77], s[22:23]
	s_cbranch_execnz .LBB16_77
.LBB16_45:                              ;   in Loop: Header=BB16_31 Depth=1
	s_or_b64 exec, exec, s[76:77]
	s_and_saveexec_b64 s[76:77], s[24:25]
	s_cbranch_execnz .LBB16_78
.LBB16_46:                              ;   in Loop: Header=BB16_31 Depth=1
	s_or_b64 exec, exec, s[76:77]
	s_and_saveexec_b64 s[76:77], s[26:27]
	s_cbranch_execnz .LBB16_79
.LBB16_47:                              ;   in Loop: Header=BB16_31 Depth=1
	s_or_b64 exec, exec, s[76:77]
	s_and_saveexec_b64 s[76:77], s[28:29]
	s_cbranch_execnz .LBB16_80
.LBB16_48:                              ;   in Loop: Header=BB16_31 Depth=1
	s_or_b64 exec, exec, s[76:77]
	s_and_saveexec_b64 s[76:77], s[30:31]
	s_cbranch_execnz .LBB16_81
.LBB16_49:                              ;   in Loop: Header=BB16_31 Depth=1
	s_or_b64 exec, exec, s[76:77]
	s_and_saveexec_b64 s[76:77], s[34:35]
	s_cbranch_execnz .LBB16_82
.LBB16_50:                              ;   in Loop: Header=BB16_31 Depth=1
	s_or_b64 exec, exec, s[76:77]
	s_and_saveexec_b64 s[76:77], s[36:37]
	s_cbranch_execnz .LBB16_83
.LBB16_51:                              ;   in Loop: Header=BB16_31 Depth=1
	s_or_b64 exec, exec, s[76:77]
	s_and_saveexec_b64 s[76:77], s[38:39]
	s_cbranch_execnz .LBB16_84
.LBB16_52:                              ;   in Loop: Header=BB16_31 Depth=1
	s_or_b64 exec, exec, s[76:77]
	s_and_saveexec_b64 s[76:77], s[40:41]
	s_cbranch_execnz .LBB16_85
.LBB16_53:                              ;   in Loop: Header=BB16_31 Depth=1
	s_or_b64 exec, exec, s[76:77]
	s_and_saveexec_b64 s[76:77], s[42:43]
	s_cbranch_execnz .LBB16_86
.LBB16_54:                              ;   in Loop: Header=BB16_31 Depth=1
	s_or_b64 exec, exec, s[76:77]
	s_and_saveexec_b64 s[76:77], s[44:45]
	s_cbranch_execnz .LBB16_87
.LBB16_55:                              ;   in Loop: Header=BB16_31 Depth=1
	s_or_b64 exec, exec, s[76:77]
	s_and_saveexec_b64 s[76:77], s[46:47]
	s_cbranch_execnz .LBB16_88
.LBB16_56:                              ;   in Loop: Header=BB16_31 Depth=1
	s_or_b64 exec, exec, s[76:77]
	s_and_saveexec_b64 s[76:77], s[48:49]
	s_cbranch_execnz .LBB16_89
.LBB16_57:                              ;   in Loop: Header=BB16_31 Depth=1
	s_or_b64 exec, exec, s[76:77]
	s_and_saveexec_b64 s[76:77], s[50:51]
	s_cbranch_execnz .LBB16_90
.LBB16_58:                              ;   in Loop: Header=BB16_31 Depth=1
	s_or_b64 exec, exec, s[76:77]
	s_and_saveexec_b64 s[76:77], s[52:53]
	s_cbranch_execnz .LBB16_91
.LBB16_59:                              ;   in Loop: Header=BB16_31 Depth=1
	s_or_b64 exec, exec, s[76:77]
	s_and_saveexec_b64 s[76:77], s[54:55]
	s_cbranch_execnz .LBB16_92
.LBB16_60:                              ;   in Loop: Header=BB16_31 Depth=1
	s_or_b64 exec, exec, s[76:77]
	s_and_saveexec_b64 s[76:77], s[56:57]
	s_cbranch_execnz .LBB16_93
.LBB16_61:                              ;   in Loop: Header=BB16_31 Depth=1
	s_or_b64 exec, exec, s[76:77]
	s_and_saveexec_b64 s[76:77], s[58:59]
	s_cbranch_execnz .LBB16_94
.LBB16_62:                              ;   in Loop: Header=BB16_31 Depth=1
	s_or_b64 exec, exec, s[76:77]
	s_and_saveexec_b64 s[76:77], s[64:65]
	s_cbranch_execnz .LBB16_95
.LBB16_63:                              ;   in Loop: Header=BB16_31 Depth=1
	s_or_b64 exec, exec, s[76:77]
	s_and_saveexec_b64 s[64:65], vcc
	s_cbranch_execz .LBB16_30
	s_branch .LBB16_96
.LBB16_64:                              ;   in Loop: Header=BB16_31 Depth=1
	ds_read_b32 v10, v3 offset:32768
	s_waitcnt lgkmcnt(0)
	v_add_u32_e32 v9, v10, v9
	s_or_b64 exec, exec, s[76:77]
	s_and_saveexec_b64 s[76:77], s[62:63]
	s_cbranch_execz .LBB16_33
.LBB16_65:                              ;   in Loop: Header=BB16_31 Depth=1
	ds_read_b32 v10, v3 offset:32772
	s_waitcnt lgkmcnt(0)
	v_add_u32_e32 v9, v10, v9
	s_or_b64 exec, exec, s[76:77]
	s_and_saveexec_b64 s[76:77], s[0:1]
	s_cbranch_execz .LBB16_34
.LBB16_66:                              ;   in Loop: Header=BB16_31 Depth=1
	ds_read_b32 v10, v3 offset:32776
	s_waitcnt lgkmcnt(0)
	v_add_u32_e32 v9, v10, v9
	s_or_b64 exec, exec, s[76:77]
	s_and_saveexec_b64 s[76:77], s[2:3]
	s_cbranch_execz .LBB16_35
.LBB16_67:                              ;   in Loop: Header=BB16_31 Depth=1
	ds_read_b32 v10, v3 offset:32780
	s_waitcnt lgkmcnt(0)
	v_add_u32_e32 v9, v10, v9
	s_or_b64 exec, exec, s[76:77]
	s_and_saveexec_b64 s[76:77], s[4:5]
	s_cbranch_execz .LBB16_36
.LBB16_68:                              ;   in Loop: Header=BB16_31 Depth=1
	ds_read_b32 v10, v3 offset:32784
	s_waitcnt lgkmcnt(0)
	v_add_u32_e32 v9, v10, v9
	s_or_b64 exec, exec, s[76:77]
	s_and_saveexec_b64 s[76:77], s[6:7]
	s_cbranch_execz .LBB16_37
.LBB16_69:                              ;   in Loop: Header=BB16_31 Depth=1
	ds_read_b32 v10, v3 offset:32788
	s_waitcnt lgkmcnt(0)
	v_add_u32_e32 v9, v10, v9
	s_or_b64 exec, exec, s[76:77]
	s_and_saveexec_b64 s[76:77], s[8:9]
	s_cbranch_execz .LBB16_38
.LBB16_70:                              ;   in Loop: Header=BB16_31 Depth=1
	ds_read_b32 v10, v3 offset:32792
	s_waitcnt lgkmcnt(0)
	v_add_u32_e32 v9, v10, v9
	s_or_b64 exec, exec, s[76:77]
	s_and_saveexec_b64 s[76:77], s[10:11]
	s_cbranch_execz .LBB16_39
.LBB16_71:                              ;   in Loop: Header=BB16_31 Depth=1
	ds_read_b32 v10, v3 offset:32796
	s_waitcnt lgkmcnt(0)
	v_add_u32_e32 v9, v10, v9
	s_or_b64 exec, exec, s[76:77]
	s_and_saveexec_b64 s[76:77], s[12:13]
	s_cbranch_execz .LBB16_40
.LBB16_72:                              ;   in Loop: Header=BB16_31 Depth=1
	ds_read_b32 v10, v3 offset:32800
	s_waitcnt lgkmcnt(0)
	v_add_u32_e32 v9, v10, v9
	s_or_b64 exec, exec, s[76:77]
	s_and_saveexec_b64 s[76:77], s[14:15]
	s_cbranch_execz .LBB16_41
.LBB16_73:                              ;   in Loop: Header=BB16_31 Depth=1
	ds_read_b32 v10, v3 offset:32804
	s_waitcnt lgkmcnt(0)
	v_add_u32_e32 v9, v10, v9
	s_or_b64 exec, exec, s[76:77]
	s_and_saveexec_b64 s[76:77], s[16:17]
	s_cbranch_execz .LBB16_42
.LBB16_74:                              ;   in Loop: Header=BB16_31 Depth=1
	ds_read_b32 v10, v3 offset:32808
	s_waitcnt lgkmcnt(0)
	v_add_u32_e32 v9, v10, v9
	s_or_b64 exec, exec, s[76:77]
	s_and_saveexec_b64 s[76:77], s[18:19]
	s_cbranch_execz .LBB16_43
.LBB16_75:                              ;   in Loop: Header=BB16_31 Depth=1
	ds_read_b32 v10, v3 offset:32812
	s_waitcnt lgkmcnt(0)
	v_add_u32_e32 v9, v10, v9
	s_or_b64 exec, exec, s[76:77]
	s_and_saveexec_b64 s[76:77], s[20:21]
	s_cbranch_execz .LBB16_44
.LBB16_76:                              ;   in Loop: Header=BB16_31 Depth=1
	ds_read_b32 v10, v3 offset:32816
	s_waitcnt lgkmcnt(0)
	v_add_u32_e32 v9, v10, v9
	s_or_b64 exec, exec, s[76:77]
	s_and_saveexec_b64 s[76:77], s[22:23]
	s_cbranch_execz .LBB16_45
.LBB16_77:                              ;   in Loop: Header=BB16_31 Depth=1
	ds_read_b32 v10, v3 offset:32820
	s_waitcnt lgkmcnt(0)
	v_add_u32_e32 v9, v10, v9
	s_or_b64 exec, exec, s[76:77]
	s_and_saveexec_b64 s[76:77], s[24:25]
	s_cbranch_execz .LBB16_46
.LBB16_78:                              ;   in Loop: Header=BB16_31 Depth=1
	ds_read_b32 v10, v3 offset:32824
	s_waitcnt lgkmcnt(0)
	v_add_u32_e32 v9, v10, v9
	s_or_b64 exec, exec, s[76:77]
	s_and_saveexec_b64 s[76:77], s[26:27]
	s_cbranch_execz .LBB16_47
.LBB16_79:                              ;   in Loop: Header=BB16_31 Depth=1
	ds_read_b32 v10, v3 offset:32828
	s_waitcnt lgkmcnt(0)
	v_add_u32_e32 v9, v10, v9
	s_or_b64 exec, exec, s[76:77]
	s_and_saveexec_b64 s[76:77], s[28:29]
	s_cbranch_execz .LBB16_48
.LBB16_80:                              ;   in Loop: Header=BB16_31 Depth=1
	ds_read_b32 v10, v3 offset:32832
	s_waitcnt lgkmcnt(0)
	v_add_u32_e32 v9, v10, v9
	s_or_b64 exec, exec, s[76:77]
	s_and_saveexec_b64 s[76:77], s[30:31]
	s_cbranch_execz .LBB16_49
.LBB16_81:                              ;   in Loop: Header=BB16_31 Depth=1
	ds_read_b32 v10, v3 offset:32836
	s_waitcnt lgkmcnt(0)
	v_add_u32_e32 v9, v10, v9
	s_or_b64 exec, exec, s[76:77]
	s_and_saveexec_b64 s[76:77], s[34:35]
	s_cbranch_execz .LBB16_50
.LBB16_82:                              ;   in Loop: Header=BB16_31 Depth=1
	ds_read_b32 v10, v3 offset:32840
	s_waitcnt lgkmcnt(0)
	v_add_u32_e32 v9, v10, v9
	s_or_b64 exec, exec, s[76:77]
	s_and_saveexec_b64 s[76:77], s[36:37]
	s_cbranch_execz .LBB16_51
.LBB16_83:                              ;   in Loop: Header=BB16_31 Depth=1
	ds_read_b32 v10, v3 offset:32844
	s_waitcnt lgkmcnt(0)
	v_add_u32_e32 v9, v10, v9
	s_or_b64 exec, exec, s[76:77]
	s_and_saveexec_b64 s[76:77], s[38:39]
	s_cbranch_execz .LBB16_52
.LBB16_84:                              ;   in Loop: Header=BB16_31 Depth=1
	ds_read_b32 v10, v3 offset:32848
	s_waitcnt lgkmcnt(0)
	v_add_u32_e32 v9, v10, v9
	s_or_b64 exec, exec, s[76:77]
	s_and_saveexec_b64 s[76:77], s[40:41]
	s_cbranch_execz .LBB16_53
.LBB16_85:                              ;   in Loop: Header=BB16_31 Depth=1
	ds_read_b32 v10, v3 offset:32852
	s_waitcnt lgkmcnt(0)
	v_add_u32_e32 v9, v10, v9
	s_or_b64 exec, exec, s[76:77]
	s_and_saveexec_b64 s[76:77], s[42:43]
	s_cbranch_execz .LBB16_54
.LBB16_86:                              ;   in Loop: Header=BB16_31 Depth=1
	ds_read_b32 v10, v3 offset:32856
	s_waitcnt lgkmcnt(0)
	v_add_u32_e32 v9, v10, v9
	s_or_b64 exec, exec, s[76:77]
	s_and_saveexec_b64 s[76:77], s[44:45]
	s_cbranch_execz .LBB16_55
.LBB16_87:                              ;   in Loop: Header=BB16_31 Depth=1
	ds_read_b32 v10, v3 offset:32860
	s_waitcnt lgkmcnt(0)
	v_add_u32_e32 v9, v10, v9
	s_or_b64 exec, exec, s[76:77]
	s_and_saveexec_b64 s[76:77], s[46:47]
	s_cbranch_execz .LBB16_56
.LBB16_88:                              ;   in Loop: Header=BB16_31 Depth=1
	ds_read_b32 v10, v3 offset:32864
	s_waitcnt lgkmcnt(0)
	v_add_u32_e32 v9, v10, v9
	s_or_b64 exec, exec, s[76:77]
	s_and_saveexec_b64 s[76:77], s[48:49]
	s_cbranch_execz .LBB16_57
.LBB16_89:                              ;   in Loop: Header=BB16_31 Depth=1
	ds_read_b32 v10, v3 offset:32868
	s_waitcnt lgkmcnt(0)
	v_add_u32_e32 v9, v10, v9
	s_or_b64 exec, exec, s[76:77]
	s_and_saveexec_b64 s[76:77], s[50:51]
	s_cbranch_execz .LBB16_58
.LBB16_90:                              ;   in Loop: Header=BB16_31 Depth=1
	ds_read_b32 v10, v3 offset:32872
	s_waitcnt lgkmcnt(0)
	v_add_u32_e32 v9, v10, v9
	s_or_b64 exec, exec, s[76:77]
	s_and_saveexec_b64 s[76:77], s[52:53]
	s_cbranch_execz .LBB16_59
.LBB16_91:                              ;   in Loop: Header=BB16_31 Depth=1
	ds_read_b32 v10, v3 offset:32876
	s_waitcnt lgkmcnt(0)
	v_add_u32_e32 v9, v10, v9
	s_or_b64 exec, exec, s[76:77]
	s_and_saveexec_b64 s[76:77], s[54:55]
	s_cbranch_execz .LBB16_60
.LBB16_92:                              ;   in Loop: Header=BB16_31 Depth=1
	ds_read_b32 v10, v3 offset:32880
	s_waitcnt lgkmcnt(0)
	v_add_u32_e32 v9, v10, v9
	s_or_b64 exec, exec, s[76:77]
	s_and_saveexec_b64 s[76:77], s[56:57]
	s_cbranch_execz .LBB16_61
.LBB16_93:                              ;   in Loop: Header=BB16_31 Depth=1
	ds_read_b32 v10, v3 offset:32884
	s_waitcnt lgkmcnt(0)
	v_add_u32_e32 v9, v10, v9
	s_or_b64 exec, exec, s[76:77]
	s_and_saveexec_b64 s[76:77], s[58:59]
	s_cbranch_execz .LBB16_62
.LBB16_94:                              ;   in Loop: Header=BB16_31 Depth=1
	ds_read_b32 v10, v3 offset:32888
	s_waitcnt lgkmcnt(0)
	v_add_u32_e32 v9, v10, v9
	s_or_b64 exec, exec, s[76:77]
	s_and_saveexec_b64 s[76:77], s[64:65]
	s_cbranch_execz .LBB16_63
.LBB16_95:                              ;   in Loop: Header=BB16_31 Depth=1
	v_lshlrev_b32_e32 v10, 2, v7
	v_add_u32_e32 v10, 0, v10
	v_lshlrev_b32_e32 v11, 2, v9
	v_add3_u32 v10, v10, v11, -4
	ds_write_b32 v10, v8
	s_or_b64 exec, exec, s[76:77]
	s_and_saveexec_b64 s[64:65], vcc
	s_cbranch_execz .LBB16_30
.LBB16_96:                              ;   in Loop: Header=BB16_31 Depth=1
	ds_write_b32 v3, v9 offset:32892
	s_branch .LBB16_30
.LBB16_97:
	s_or_b64 exec, exec, s[74:75]
	s_ashr_i32 s73, s72, 31
	s_lshl_b64 s[0:1], s[72:73], 2
	s_add_u32 s2, s68, s0
	s_addc_u32 s3, s69, s1
	s_load_dwordx2 s[0:1], s[2:3], 0x0
	s_waitcnt lgkmcnt(0)
	s_sub_i32 s6, s1, s0
	v_cmp_gt_i32_e32 vcc, s6, v0
	s_and_saveexec_b64 s[2:3], vcc
	s_cbranch_execz .LBB16_107
; %bb.98:
	s_sub_i32 s7, s0, s66
	s_and_b32 s8, s6, 7
	s_sub_i32 s0, s0, s1
	s_cmp_lt_u32 s0, -7
	s_cselect_b64 s[0:1], -1, 0
	s_and_b32 s9, s6, -8
	s_cmp_lg_u32 s8, 0
	v_cndmask_b32_e64 v1, 0, 1, s[0:1]
	s_cselect_b64 s[2:3], -1, 0
	v_cmp_ne_u32_e64 s[0:1], 1, v1
	v_cndmask_b32_e64 v1, 0, 1, s[2:3]
	s_mov_b64 s[4:5], 0
	v_cmp_ne_u32_e64 s[2:3], 1, v1
	v_mov_b32_e32 v3, s71
	s_branch .LBB16_100
.LBB16_99:                              ;   in Loop: Header=BB16_100 Depth=1
	s_waitcnt lgkmcnt(0)
	v_add_u32_e32 v4, s66, v2
	v_ashrrev_i32_e32 v2, 31, v1
	v_lshlrev_b64 v[1:2], 2, v[1:2]
	v_add_u32_e32 v0, 0x400, v0
	v_add_co_u32_e32 v1, vcc, s70, v1
	v_addc_co_u32_e32 v2, vcc, v3, v2, vcc
	v_cmp_le_i32_e32 vcc, s6, v0
	s_or_b64 s[4:5], vcc, s[4:5]
	global_store_dword v[1:2], v4, off
	s_andn2_b64 exec, exec, s[4:5]
	s_cbranch_execz .LBB16_107
.LBB16_100:                             ; =>This Loop Header: Depth=1
                                        ;     Child Loop BB16_102 Depth 2
                                        ;     Child Loop BB16_106 Depth 2
	v_lshl_add_u32 v1, v0, 2, 0
	ds_read_b32 v2, v1
	s_and_b64 vcc, exec, s[0:1]
	v_mov_b32_e32 v1, s7
	s_mov_b32 s10, 0
	s_cbranch_vccnz .LBB16_104
; %bb.101:                              ;   in Loop: Header=BB16_100 Depth=1
	s_mov_b32 s11, 0
	v_mov_b32_e32 v1, s7
.LBB16_102:                             ;   Parent Loop BB16_100 Depth=1
                                        ; =>  This Inner Loop Header: Depth=2
	v_mov_b32_e32 v10, s11
	ds_read2_b32 v[4:5], v10 offset1:1
	ds_read2_b32 v[6:7], v10 offset0:2 offset1:3
	ds_read2_b32 v[8:9], v10 offset0:4 offset1:5
	ds_read2_b32 v[10:11], v10 offset0:6 offset1:7
	s_add_i32 s10, s10, 8
	s_waitcnt lgkmcnt(3)
	v_cmp_gt_i32_e32 vcc, v2, v4
	v_cndmask_b32_e64 v4, 0, 1, vcc
	s_waitcnt lgkmcnt(2)
	v_cmp_gt_i32_e32 vcc, v2, v6
	v_cndmask_b32_e64 v6, 0, 1, vcc
	;; [unrolled: 3-line block ×4, first 2 shown]
	v_cmp_gt_i32_e32 vcc, v2, v5
	v_addc_co_u32_e32 v1, vcc, v1, v4, vcc
	v_cmp_gt_i32_e32 vcc, v2, v7
	v_addc_co_u32_e32 v1, vcc, v1, v6, vcc
	;; [unrolled: 2-line block ×3, first 2 shown]
	s_add_i32 s11, s11, 32
	v_cmp_gt_i32_e32 vcc, v2, v11
	s_cmp_eq_u32 s9, s10
	v_addc_co_u32_e32 v1, vcc, v1, v10, vcc
	s_cbranch_scc0 .LBB16_102
; %bb.103:                              ;   in Loop: Header=BB16_100 Depth=1
	s_mov_b32 s10, s9
.LBB16_104:                             ;   in Loop: Header=BB16_100 Depth=1
	s_and_b64 vcc, exec, s[2:3]
	s_cbranch_vccnz .LBB16_99
; %bb.105:                              ;   in Loop: Header=BB16_100 Depth=1
	s_lshl_b32 s10, s10, 2
	s_add_i32 s10, s10, 0
	s_mov_b32 s11, s8
.LBB16_106:                             ;   Parent Loop BB16_100 Depth=1
                                        ; =>  This Inner Loop Header: Depth=2
	v_mov_b32_e32 v4, s10
	ds_read_b32 v4, v4
	s_add_i32 s10, s10, 4
	s_add_i32 s11, s11, -1
	s_cmp_lg_u32 s11, 0
	s_waitcnt lgkmcnt(0)
	v_cmp_gt_i32_e32 vcc, v2, v4
	v_addc_co_u32_e32 v1, vcc, 0, v1, vcc
	s_cbranch_scc1 .LBB16_106
	s_branch .LBB16_99
.LBB16_107:
	s_endpgm
	.section	.rodata,"a",@progbits
	.p2align	6, 0x0
	.amdhsa_kernel _ZN9rocsparseL35csrgemm_symbolic_fill_block_per_rowILj1024ELj64ELj8192ELj137ELj32EiiEEvT5_PKS1_S3_PKT4_S3_S6_S3_S6_S3_S6_PS1_21rocsparse_index_base_S8_S8_S8_bb
		.amdhsa_group_segment_fixed_size 0
		.amdhsa_private_segment_fixed_size 0
		.amdhsa_kernarg_size 108
		.amdhsa_user_sgpr_count 6
		.amdhsa_user_sgpr_private_segment_buffer 1
		.amdhsa_user_sgpr_dispatch_ptr 0
		.amdhsa_user_sgpr_queue_ptr 0
		.amdhsa_user_sgpr_kernarg_segment_ptr 1
		.amdhsa_user_sgpr_dispatch_id 0
		.amdhsa_user_sgpr_flat_scratch_init 0
		.amdhsa_user_sgpr_private_segment_size 0
		.amdhsa_uses_dynamic_stack 0
		.amdhsa_system_sgpr_private_segment_wavefront_offset 0
		.amdhsa_system_sgpr_workgroup_id_x 1
		.amdhsa_system_sgpr_workgroup_id_y 0
		.amdhsa_system_sgpr_workgroup_id_z 0
		.amdhsa_system_sgpr_workgroup_info 0
		.amdhsa_system_vgpr_workitem_id 0
		.amdhsa_next_free_vgpr 12
		.amdhsa_next_free_sgpr 78
		.amdhsa_reserve_vcc 1
		.amdhsa_reserve_flat_scratch 0
		.amdhsa_float_round_mode_32 0
		.amdhsa_float_round_mode_16_64 0
		.amdhsa_float_denorm_mode_32 3
		.amdhsa_float_denorm_mode_16_64 3
		.amdhsa_dx10_clamp 1
		.amdhsa_ieee_mode 1
		.amdhsa_fp16_overflow 0
		.amdhsa_exception_fp_ieee_invalid_op 0
		.amdhsa_exception_fp_denorm_src 0
		.amdhsa_exception_fp_ieee_div_zero 0
		.amdhsa_exception_fp_ieee_overflow 0
		.amdhsa_exception_fp_ieee_underflow 0
		.amdhsa_exception_fp_ieee_inexact 0
		.amdhsa_exception_int_div_zero 0
	.end_amdhsa_kernel
	.section	.text._ZN9rocsparseL35csrgemm_symbolic_fill_block_per_rowILj1024ELj64ELj8192ELj137ELj32EiiEEvT5_PKS1_S3_PKT4_S3_S6_S3_S6_S3_S6_PS1_21rocsparse_index_base_S8_S8_S8_bb,"axG",@progbits,_ZN9rocsparseL35csrgemm_symbolic_fill_block_per_rowILj1024ELj64ELj8192ELj137ELj32EiiEEvT5_PKS1_S3_PKT4_S3_S6_S3_S6_S3_S6_PS1_21rocsparse_index_base_S8_S8_S8_bb,comdat
.Lfunc_end16:
	.size	_ZN9rocsparseL35csrgemm_symbolic_fill_block_per_rowILj1024ELj64ELj8192ELj137ELj32EiiEEvT5_PKS1_S3_PKT4_S3_S6_S3_S6_S3_S6_PS1_21rocsparse_index_base_S8_S8_S8_bb, .Lfunc_end16-_ZN9rocsparseL35csrgemm_symbolic_fill_block_per_rowILj1024ELj64ELj8192ELj137ELj32EiiEEvT5_PKS1_S3_PKT4_S3_S6_S3_S6_S3_S6_PS1_21rocsparse_index_base_S8_S8_S8_bb
                                        ; -- End function
	.set _ZN9rocsparseL35csrgemm_symbolic_fill_block_per_rowILj1024ELj64ELj8192ELj137ELj32EiiEEvT5_PKS1_S3_PKT4_S3_S6_S3_S6_S3_S6_PS1_21rocsparse_index_base_S8_S8_S8_bb.num_vgpr, 12
	.set _ZN9rocsparseL35csrgemm_symbolic_fill_block_per_rowILj1024ELj64ELj8192ELj137ELj32EiiEEvT5_PKS1_S3_PKT4_S3_S6_S3_S6_S3_S6_PS1_21rocsparse_index_base_S8_S8_S8_bb.num_agpr, 0
	.set _ZN9rocsparseL35csrgemm_symbolic_fill_block_per_rowILj1024ELj64ELj8192ELj137ELj32EiiEEvT5_PKS1_S3_PKT4_S3_S6_S3_S6_S3_S6_PS1_21rocsparse_index_base_S8_S8_S8_bb.numbered_sgpr, 78
	.set _ZN9rocsparseL35csrgemm_symbolic_fill_block_per_rowILj1024ELj64ELj8192ELj137ELj32EiiEEvT5_PKS1_S3_PKT4_S3_S6_S3_S6_S3_S6_PS1_21rocsparse_index_base_S8_S8_S8_bb.num_named_barrier, 0
	.set _ZN9rocsparseL35csrgemm_symbolic_fill_block_per_rowILj1024ELj64ELj8192ELj137ELj32EiiEEvT5_PKS1_S3_PKT4_S3_S6_S3_S6_S3_S6_PS1_21rocsparse_index_base_S8_S8_S8_bb.private_seg_size, 0
	.set _ZN9rocsparseL35csrgemm_symbolic_fill_block_per_rowILj1024ELj64ELj8192ELj137ELj32EiiEEvT5_PKS1_S3_PKT4_S3_S6_S3_S6_S3_S6_PS1_21rocsparse_index_base_S8_S8_S8_bb.uses_vcc, 1
	.set _ZN9rocsparseL35csrgemm_symbolic_fill_block_per_rowILj1024ELj64ELj8192ELj137ELj32EiiEEvT5_PKS1_S3_PKT4_S3_S6_S3_S6_S3_S6_PS1_21rocsparse_index_base_S8_S8_S8_bb.uses_flat_scratch, 0
	.set _ZN9rocsparseL35csrgemm_symbolic_fill_block_per_rowILj1024ELj64ELj8192ELj137ELj32EiiEEvT5_PKS1_S3_PKT4_S3_S6_S3_S6_S3_S6_PS1_21rocsparse_index_base_S8_S8_S8_bb.has_dyn_sized_stack, 0
	.set _ZN9rocsparseL35csrgemm_symbolic_fill_block_per_rowILj1024ELj64ELj8192ELj137ELj32EiiEEvT5_PKS1_S3_PKT4_S3_S6_S3_S6_S3_S6_PS1_21rocsparse_index_base_S8_S8_S8_bb.has_recursion, 0
	.set _ZN9rocsparseL35csrgemm_symbolic_fill_block_per_rowILj1024ELj64ELj8192ELj137ELj32EiiEEvT5_PKS1_S3_PKT4_S3_S6_S3_S6_S3_S6_PS1_21rocsparse_index_base_S8_S8_S8_bb.has_indirect_call, 0
	.section	.AMDGPU.csdata,"",@progbits
; Kernel info:
; codeLenInByte = 3312
; TotalNumSgprs: 82
; NumVgprs: 12
; ScratchSize: 0
; MemoryBound: 0
; FloatMode: 240
; IeeeMode: 1
; LDSByteSize: 0 bytes/workgroup (compile time only)
; SGPRBlocks: 10
; VGPRBlocks: 2
; NumSGPRsForWavesPerEU: 82
; NumVGPRsForWavesPerEU: 12
; Occupancy: 9
; WaveLimiterHint : 1
; COMPUTE_PGM_RSRC2:SCRATCH_EN: 0
; COMPUTE_PGM_RSRC2:USER_SGPR: 6
; COMPUTE_PGM_RSRC2:TRAP_HANDLER: 0
; COMPUTE_PGM_RSRC2:TGID_X_EN: 1
; COMPUTE_PGM_RSRC2:TGID_Y_EN: 0
; COMPUTE_PGM_RSRC2:TGID_Z_EN: 0
; COMPUTE_PGM_RSRC2:TIDIG_COMP_CNT: 0
	.section	.text._ZN9rocsparseL35csrgemm_symbolic_fill_block_per_rowILj1024ELj64ELj8192ELj137ELj64EiiEEvT5_PKS1_S3_PKT4_S3_S6_S3_S6_S3_S6_PS1_21rocsparse_index_base_S8_S8_S8_bb,"axG",@progbits,_ZN9rocsparseL35csrgemm_symbolic_fill_block_per_rowILj1024ELj64ELj8192ELj137ELj64EiiEEvT5_PKS1_S3_PKT4_S3_S6_S3_S6_S3_S6_PS1_21rocsparse_index_base_S8_S8_S8_bb,comdat
	.globl	_ZN9rocsparseL35csrgemm_symbolic_fill_block_per_rowILj1024ELj64ELj8192ELj137ELj64EiiEEvT5_PKS1_S3_PKT4_S3_S6_S3_S6_S3_S6_PS1_21rocsparse_index_base_S8_S8_S8_bb ; -- Begin function _ZN9rocsparseL35csrgemm_symbolic_fill_block_per_rowILj1024ELj64ELj8192ELj137ELj64EiiEEvT5_PKS1_S3_PKT4_S3_S6_S3_S6_S3_S6_PS1_21rocsparse_index_base_S8_S8_S8_bb
	.p2align	8
	.type	_ZN9rocsparseL35csrgemm_symbolic_fill_block_per_rowILj1024ELj64ELj8192ELj137ELj64EiiEEvT5_PKS1_S3_PKT4_S3_S6_S3_S6_S3_S6_PS1_21rocsparse_index_base_S8_S8_S8_bb,@function
_ZN9rocsparseL35csrgemm_symbolic_fill_block_per_rowILj1024ELj64ELj8192ELj137ELj64EiiEEvT5_PKS1_S3_PKT4_S3_S6_S3_S6_S3_S6_PS1_21rocsparse_index_base_S8_S8_S8_bb: ; @_ZN9rocsparseL35csrgemm_symbolic_fill_block_per_rowILj1024ELj64ELj8192ELj137ELj64EiiEEvT5_PKS1_S3_PKT4_S3_S6_S3_S6_S3_S6_PS1_21rocsparse_index_base_S8_S8_S8_bb
; %bb.0:
	s_load_dword s33, s[4:5], 0x0
	s_load_dwordx4 s[0:3], s[4:5], 0x8
	v_lshl_add_u32 v4, v0, 2, 0
	v_lshrrev_b32_e32 v5, 6, v0
	s_waitcnt lgkmcnt(0)
	v_mov_b32_e32 v1, s33
	v_mov_b32_e32 v2, s33
	ds_write2st64_b32 v4, v1, v2 offset1:16
	ds_write2st64_b32 v4, v1, v2 offset0:32 offset1:48
	ds_write2st64_b32 v4, v1, v2 offset0:64 offset1:80
	;; [unrolled: 1-line block ×3, first 2 shown]
	s_waitcnt lgkmcnt(0)
	s_barrier
	s_load_dword s7, s[0:1], 0x0
	s_load_dword s26, s[4:5], 0x68
	s_load_dwordx4 s[36:39], s[4:5], 0x58
	s_mov_b32 s1, 0
	s_waitcnt lgkmcnt(0)
	s_add_i32 s0, s7, s6
	s_lshl_b64 s[0:1], s[0:1], 2
	s_add_u32 s0, s2, s0
	s_addc_u32 s1, s3, s1
	s_load_dword s34, s[0:1], 0x0
	s_bitcmp0_b32 s26, 0
	s_cbranch_scc1 .LBB17_16
; %bb.1:
	s_load_dwordx2 s[0:1], s[4:5], 0x18
	s_waitcnt lgkmcnt(0)
	s_ashr_i32 s35, s34, 31
	s_lshl_b64 s[2:3], s[34:35], 2
	v_subrev_u32_e32 v1, s36, v5
	s_add_u32 s0, s0, s2
	s_addc_u32 s1, s1, s3
	s_load_dwordx2 s[2:3], s[0:1], 0x0
	s_waitcnt lgkmcnt(0)
	s_sub_i32 s27, s3, s36
	v_add_u32_e32 v1, s2, v1
	v_cmp_gt_i32_e32 vcc, s27, v1
	s_and_saveexec_b64 s[6:7], vcc
	s_cbranch_execz .LBB17_15
; %bb.2:
	s_load_dwordx4 s[0:3], s[4:5], 0x20
	s_load_dwordx2 s[8:9], s[4:5], 0x30
	v_and_b32_e32 v2, 63, v0
	s_mov_b64 s[10:11], 0
	v_subrev_u32_e32 v6, s37, v2
	s_waitcnt lgkmcnt(0)
	v_mov_b32_e32 v7, s1
	v_mov_b32_e32 v8, s3
	s_movk_i32 s1, 0x89
	s_branch .LBB17_4
.LBB17_3:                               ;   in Loop: Header=BB17_4 Depth=1
	s_or_b64 exec, exec, s[12:13]
	v_add_u32_e32 v1, 16, v1
	v_cmp_le_i32_e32 vcc, s27, v1
	s_or_b64 s[10:11], vcc, s[10:11]
	s_andn2_b64 exec, exec, s[10:11]
	s_cbranch_execz .LBB17_15
.LBB17_4:                               ; =>This Loop Header: Depth=1
                                        ;     Child Loop BB17_7 Depth 2
                                        ;       Child Loop BB17_10 Depth 3
	v_ashrrev_i32_e32 v2, 31, v1
	v_lshlrev_b64 v[2:3], 2, v[1:2]
	v_add_co_u32_e32 v2, vcc, s0, v2
	v_addc_co_u32_e32 v3, vcc, v7, v3, vcc
	global_load_dword v2, v[2:3], off
	s_waitcnt vmcnt(0)
	v_subrev_u32_e32 v2, s36, v2
	v_ashrrev_i32_e32 v3, 31, v2
	v_lshlrev_b64 v[2:3], 2, v[2:3]
	v_add_co_u32_e32 v2, vcc, s2, v2
	v_addc_co_u32_e32 v3, vcc, v8, v3, vcc
	global_load_dwordx2 v[2:3], v[2:3], off
	s_waitcnt vmcnt(0)
	v_subrev_u32_e32 v9, s37, v3
	v_add_u32_e32 v2, v2, v6
	v_cmp_lt_i32_e32 vcc, v2, v9
	s_and_saveexec_b64 s[12:13], vcc
	s_cbranch_execz .LBB17_3
; %bb.5:                                ;   in Loop: Header=BB17_4 Depth=1
	s_mov_b64 s[14:15], 0
	s_branch .LBB17_7
.LBB17_6:                               ;   in Loop: Header=BB17_7 Depth=2
	s_or_b64 exec, exec, s[16:17]
	v_add_u32_e32 v2, 64, v2
	v_cmp_ge_i32_e32 vcc, v2, v9
	s_or_b64 s[14:15], vcc, s[14:15]
	s_andn2_b64 exec, exec, s[14:15]
	s_cbranch_execz .LBB17_3
.LBB17_7:                               ;   Parent Loop BB17_4 Depth=1
                                        ; =>  This Loop Header: Depth=2
                                        ;       Child Loop BB17_10 Depth 3
	v_ashrrev_i32_e32 v3, 31, v2
	v_lshlrev_b64 v[10:11], 2, v[2:3]
	v_mov_b32_e32 v3, s9
	v_add_co_u32_e32 v10, vcc, s8, v10
	v_addc_co_u32_e32 v11, vcc, v3, v11, vcc
	global_load_dword v3, v[10:11], off
	s_mov_b64 s[16:17], 0
                                        ; implicit-def: $sgpr18_sgpr19
	s_waitcnt vmcnt(0)
	v_subrev_u32_e32 v3, s37, v3
	v_mul_lo_u32 v10, v3, s1
	v_and_b32_e32 v10, 0x1fff, v10
	s_branch .LBB17_10
.LBB17_8:                               ;   in Loop: Header=BB17_10 Depth=3
	s_or_b64 exec, exec, s[22:23]
	s_andn2_b64 s[18:19], s[18:19], exec
	s_and_b64 s[22:23], s[24:25], exec
	s_or_b64 s[18:19], s[18:19], s[22:23]
.LBB17_9:                               ;   in Loop: Header=BB17_10 Depth=3
	s_or_b64 exec, exec, s[20:21]
	s_xor_b64 s[20:21], s[18:19], -1
	s_and_b64 s[20:21], exec, s[20:21]
	s_or_b64 s[16:17], s[20:21], s[16:17]
	s_andn2_b64 exec, exec, s[16:17]
	s_cbranch_execz .LBB17_6
.LBB17_10:                              ;   Parent Loop BB17_4 Depth=1
                                        ;     Parent Loop BB17_7 Depth=2
                                        ; =>    This Inner Loop Header: Depth=3
	v_lshl_add_u32 v11, v10, 2, 0
	ds_read_b32 v12, v11
	s_andn2_b64 s[18:19], s[18:19], exec
	s_waitcnt lgkmcnt(0)
	v_cmp_ne_u32_e32 vcc, v12, v3
	s_and_saveexec_b64 s[20:21], vcc
	s_cbranch_execz .LBB17_9
; %bb.11:                               ;   in Loop: Header=BB17_10 Depth=3
	v_cmp_ne_u32_e32 vcc, s33, v12
	s_and_saveexec_b64 s[22:23], vcc
	s_xor_b64 s[22:23], exec, s[22:23]
; %bb.12:                               ;   in Loop: Header=BB17_10 Depth=3
	v_add_u32_e32 v10, 1, v10
	v_and_b32_e32 v10, 0x1fff, v10
                                        ; implicit-def: $vgpr11
; %bb.13:                               ;   in Loop: Header=BB17_10 Depth=3
	s_or_saveexec_b64 s[22:23], s[22:23]
	s_mov_b64 s[24:25], -1
	s_xor_b64 exec, exec, s[22:23]
	s_cbranch_execz .LBB17_8
; %bb.14:                               ;   in Loop: Header=BB17_10 Depth=3
	v_mov_b32_e32 v12, s33
	ds_cmpst_rtn_b32 v11, v11, v12, v3
	s_waitcnt lgkmcnt(0)
	v_cmp_ne_u32_e32 vcc, s33, v11
	s_orn2_b64 s[24:25], vcc, exec
	s_branch .LBB17_8
.LBB17_15:
	s_or_b64 exec, exec, s[6:7]
.LBB17_16:
	s_load_dwordx4 s[40:43], s[4:5], 0x48
	s_bfe_u32 s0, s26, 0x10008
	s_cmp_eq_u32 s0, 0
	s_cbranch_scc1 .LBB17_29
; %bb.17:
	s_load_dwordx2 s[0:1], s[4:5], 0x38
	s_waitcnt lgkmcnt(0)
	s_ashr_i32 s35, s34, 31
	s_lshl_b64 s[2:3], s[34:35], 2
	v_subrev_u32_e32 v1, s39, v0
	s_add_u32 s0, s0, s2
	s_addc_u32 s1, s1, s3
	s_load_dwordx2 s[2:3], s[0:1], 0x0
	s_waitcnt lgkmcnt(0)
	s_sub_i32 s16, s3, s39
	v_add_u32_e32 v1, s2, v1
	v_cmp_gt_i32_e32 vcc, s16, v1
	s_and_saveexec_b64 s[0:1], vcc
	s_cbranch_execz .LBB17_28
; %bb.18:
	s_load_dwordx2 s[2:3], s[4:5], 0x40
	s_mov_b64 s[4:5], 0
	s_waitcnt lgkmcnt(0)
	v_mov_b32_e32 v3, s3
	s_movk_i32 s3, 0x89
	s_branch .LBB17_20
.LBB17_19:                              ;   in Loop: Header=BB17_20 Depth=1
	s_or_b64 exec, exec, s[6:7]
	v_add_u32_e32 v1, 0x400, v1
	v_cmp_le_i32_e32 vcc, s16, v1
	s_or_b64 s[4:5], vcc, s[4:5]
	s_andn2_b64 exec, exec, s[4:5]
	s_cbranch_execz .LBB17_28
.LBB17_20:                              ; =>This Loop Header: Depth=1
                                        ;     Child Loop BB17_23 Depth 2
	v_ashrrev_i32_e32 v2, 31, v1
	v_lshlrev_b64 v[6:7], 2, v[1:2]
	s_mov_b64 s[6:7], 0
	v_add_co_u32_e32 v6, vcc, s2, v6
	v_addc_co_u32_e32 v7, vcc, v3, v7, vcc
	global_load_dword v2, v[6:7], off
                                        ; implicit-def: $sgpr8_sgpr9
	s_waitcnt vmcnt(0)
	v_subrev_u32_e32 v2, s39, v2
	v_mul_lo_u32 v6, v2, s3
	v_and_b32_e32 v6, 0x1fff, v6
	s_branch .LBB17_23
.LBB17_21:                              ;   in Loop: Header=BB17_23 Depth=2
	s_or_b64 exec, exec, s[12:13]
	s_andn2_b64 s[8:9], s[8:9], exec
	s_and_b64 s[12:13], s[14:15], exec
	s_or_b64 s[8:9], s[8:9], s[12:13]
.LBB17_22:                              ;   in Loop: Header=BB17_23 Depth=2
	s_or_b64 exec, exec, s[10:11]
	s_xor_b64 s[10:11], s[8:9], -1
	s_and_b64 s[10:11], exec, s[10:11]
	s_or_b64 s[6:7], s[10:11], s[6:7]
	s_andn2_b64 exec, exec, s[6:7]
	s_cbranch_execz .LBB17_19
.LBB17_23:                              ;   Parent Loop BB17_20 Depth=1
                                        ; =>  This Inner Loop Header: Depth=2
	v_lshl_add_u32 v7, v6, 2, 0
	ds_read_b32 v8, v7
	s_andn2_b64 s[8:9], s[8:9], exec
	s_waitcnt lgkmcnt(0)
	v_cmp_ne_u32_e32 vcc, v8, v2
	s_and_saveexec_b64 s[10:11], vcc
	s_cbranch_execz .LBB17_22
; %bb.24:                               ;   in Loop: Header=BB17_23 Depth=2
	v_cmp_ne_u32_e32 vcc, s33, v8
	s_and_saveexec_b64 s[12:13], vcc
	s_xor_b64 s[12:13], exec, s[12:13]
; %bb.25:                               ;   in Loop: Header=BB17_23 Depth=2
	v_add_u32_e32 v6, 1, v6
	v_and_b32_e32 v6, 0x1fff, v6
                                        ; implicit-def: $vgpr7
; %bb.26:                               ;   in Loop: Header=BB17_23 Depth=2
	s_or_saveexec_b64 s[12:13], s[12:13]
	s_mov_b64 s[14:15], -1
	s_xor_b64 exec, exec, s[12:13]
	s_cbranch_execz .LBB17_21
; %bb.27:                               ;   in Loop: Header=BB17_23 Depth=2
	v_mov_b32_e32 v8, s33
	ds_cmpst_rtn_b32 v7, v7, v8, v2
	s_waitcnt lgkmcnt(0)
	v_cmp_ne_u32_e32 vcc, s33, v7
	s_orn2_b64 s[14:15], vcc, exec
	s_branch .LBB17_21
.LBB17_28:
	s_or_b64 exec, exec, s[0:1]
.LBB17_29:
	v_mbcnt_lo_u32_b32 v1, -1, 0
	v_mbcnt_hi_u32_b32 v1, -1, v1
	v_sub_u32_e32 v1, 63, v1
	v_lshrrev_b64 v[1:2], v1, -1
	s_movk_i32 s0, 0x3ff
	s_movk_i32 s2, 0x7f
	;; [unrolled: 1-line block ×15, first 2 shown]
	v_mov_b32_e32 v3, 0
	v_lshl_add_u32 v5, v5, 2, 0
	v_cmp_eq_u32_e32 vcc, s0, v0
	v_cmp_lt_u32_e64 s[0:1], 63, v0
	v_cmp_lt_u32_e64 s[2:3], s2, v0
	;; [unrolled: 1-line block ×15, first 2 shown]
	v_or_b32_e32 v6, 0xfffffc00, v0
	s_mov_b64 s[36:37], 0
	s_movk_i32 s35, 0x1bff
	v_mov_b32_e32 v7, 0
	s_waitcnt lgkmcnt(0)
	s_barrier
	s_branch .LBB17_31
.LBB17_30:                              ;   in Loop: Header=BB17_31 Depth=1
	s_or_b64 exec, exec, s[30:31]
	s_waitcnt lgkmcnt(0)
	s_barrier
	ds_read_b32 v8, v3 offset:32828
	v_add_u32_e32 v6, 0x400, v6
	v_cmp_lt_u32_e64 s[30:31], s35, v6
	s_or_b64 s[36:37], s[30:31], s[36:37]
	v_add_u32_e32 v4, 0x1000, v4
	s_waitcnt lgkmcnt(0)
	v_add_u32_e32 v7, v8, v7
	s_andn2_b64 exec, exec, s[36:37]
	s_cbranch_execz .LBB17_65
.LBB17_31:                              ; =>This Inner Loop Header: Depth=1
	ds_read_b32 v8, v4
	s_waitcnt lgkmcnt(0)
	s_barrier
	v_cmp_gt_i32_e64 s[30:31], s33, v8
	v_and_b32_e32 v10, s30, v1
	s_bcnt1_i32_b64 s39, s[30:31]
	v_and_b32_e32 v9, s31, v2
	v_bcnt_u32_b32 v10, v10, 0
	v_bcnt_u32_b32 v9, v9, v10
	v_mov_b32_e32 v10, s39
	ds_write_b32 v5, v10 offset:32768
	s_waitcnt lgkmcnt(0)
	s_barrier
	s_and_saveexec_b64 s[44:45], s[0:1]
	s_cbranch_execnz .LBB17_48
; %bb.32:                               ;   in Loop: Header=BB17_31 Depth=1
	s_or_b64 exec, exec, s[44:45]
	s_and_saveexec_b64 s[44:45], s[2:3]
	s_cbranch_execnz .LBB17_49
.LBB17_33:                              ;   in Loop: Header=BB17_31 Depth=1
	s_or_b64 exec, exec, s[44:45]
	s_and_saveexec_b64 s[44:45], s[4:5]
	s_cbranch_execnz .LBB17_50
.LBB17_34:                              ;   in Loop: Header=BB17_31 Depth=1
	s_or_b64 exec, exec, s[44:45]
	s_and_saveexec_b64 s[44:45], s[6:7]
	s_cbranch_execnz .LBB17_51
.LBB17_35:                              ;   in Loop: Header=BB17_31 Depth=1
	s_or_b64 exec, exec, s[44:45]
	s_and_saveexec_b64 s[44:45], s[8:9]
	s_cbranch_execnz .LBB17_52
.LBB17_36:                              ;   in Loop: Header=BB17_31 Depth=1
	s_or_b64 exec, exec, s[44:45]
	s_and_saveexec_b64 s[44:45], s[10:11]
	s_cbranch_execnz .LBB17_53
.LBB17_37:                              ;   in Loop: Header=BB17_31 Depth=1
	s_or_b64 exec, exec, s[44:45]
	s_and_saveexec_b64 s[44:45], s[12:13]
	s_cbranch_execnz .LBB17_54
.LBB17_38:                              ;   in Loop: Header=BB17_31 Depth=1
	s_or_b64 exec, exec, s[44:45]
	s_and_saveexec_b64 s[44:45], s[14:15]
	s_cbranch_execnz .LBB17_55
.LBB17_39:                              ;   in Loop: Header=BB17_31 Depth=1
	s_or_b64 exec, exec, s[44:45]
	s_and_saveexec_b64 s[44:45], s[16:17]
	s_cbranch_execnz .LBB17_56
.LBB17_40:                              ;   in Loop: Header=BB17_31 Depth=1
	s_or_b64 exec, exec, s[44:45]
	s_and_saveexec_b64 s[44:45], s[18:19]
	s_cbranch_execnz .LBB17_57
.LBB17_41:                              ;   in Loop: Header=BB17_31 Depth=1
	s_or_b64 exec, exec, s[44:45]
	s_and_saveexec_b64 s[44:45], s[20:21]
	s_cbranch_execnz .LBB17_58
.LBB17_42:                              ;   in Loop: Header=BB17_31 Depth=1
	s_or_b64 exec, exec, s[44:45]
	s_and_saveexec_b64 s[44:45], s[22:23]
	s_cbranch_execnz .LBB17_59
.LBB17_43:                              ;   in Loop: Header=BB17_31 Depth=1
	s_or_b64 exec, exec, s[44:45]
	s_and_saveexec_b64 s[44:45], s[24:25]
	s_cbranch_execnz .LBB17_60
.LBB17_44:                              ;   in Loop: Header=BB17_31 Depth=1
	s_or_b64 exec, exec, s[44:45]
	s_and_saveexec_b64 s[44:45], s[26:27]
	s_cbranch_execnz .LBB17_61
.LBB17_45:                              ;   in Loop: Header=BB17_31 Depth=1
	s_or_b64 exec, exec, s[44:45]
	s_and_saveexec_b64 s[44:45], s[28:29]
	s_cbranch_execnz .LBB17_62
.LBB17_46:                              ;   in Loop: Header=BB17_31 Depth=1
	s_or_b64 exec, exec, s[44:45]
	s_and_saveexec_b64 s[44:45], s[30:31]
	s_cbranch_execnz .LBB17_63
.LBB17_47:                              ;   in Loop: Header=BB17_31 Depth=1
	s_or_b64 exec, exec, s[44:45]
	s_and_saveexec_b64 s[30:31], vcc
	s_cbranch_execz .LBB17_30
	s_branch .LBB17_64
.LBB17_48:                              ;   in Loop: Header=BB17_31 Depth=1
	ds_read_b32 v10, v3 offset:32768
	s_waitcnt lgkmcnt(0)
	v_add_u32_e32 v9, v10, v9
	s_or_b64 exec, exec, s[44:45]
	s_and_saveexec_b64 s[44:45], s[2:3]
	s_cbranch_execz .LBB17_33
.LBB17_49:                              ;   in Loop: Header=BB17_31 Depth=1
	ds_read_b32 v10, v3 offset:32772
	s_waitcnt lgkmcnt(0)
	v_add_u32_e32 v9, v10, v9
	s_or_b64 exec, exec, s[44:45]
	s_and_saveexec_b64 s[44:45], s[4:5]
	s_cbranch_execz .LBB17_34
.LBB17_50:                              ;   in Loop: Header=BB17_31 Depth=1
	ds_read_b32 v10, v3 offset:32776
	s_waitcnt lgkmcnt(0)
	v_add_u32_e32 v9, v10, v9
	s_or_b64 exec, exec, s[44:45]
	s_and_saveexec_b64 s[44:45], s[6:7]
	s_cbranch_execz .LBB17_35
.LBB17_51:                              ;   in Loop: Header=BB17_31 Depth=1
	ds_read_b32 v10, v3 offset:32780
	s_waitcnt lgkmcnt(0)
	v_add_u32_e32 v9, v10, v9
	s_or_b64 exec, exec, s[44:45]
	s_and_saveexec_b64 s[44:45], s[8:9]
	s_cbranch_execz .LBB17_36
.LBB17_52:                              ;   in Loop: Header=BB17_31 Depth=1
	ds_read_b32 v10, v3 offset:32784
	s_waitcnt lgkmcnt(0)
	v_add_u32_e32 v9, v10, v9
	s_or_b64 exec, exec, s[44:45]
	s_and_saveexec_b64 s[44:45], s[10:11]
	s_cbranch_execz .LBB17_37
.LBB17_53:                              ;   in Loop: Header=BB17_31 Depth=1
	ds_read_b32 v10, v3 offset:32788
	s_waitcnt lgkmcnt(0)
	v_add_u32_e32 v9, v10, v9
	s_or_b64 exec, exec, s[44:45]
	s_and_saveexec_b64 s[44:45], s[12:13]
	s_cbranch_execz .LBB17_38
.LBB17_54:                              ;   in Loop: Header=BB17_31 Depth=1
	ds_read_b32 v10, v3 offset:32792
	s_waitcnt lgkmcnt(0)
	v_add_u32_e32 v9, v10, v9
	s_or_b64 exec, exec, s[44:45]
	s_and_saveexec_b64 s[44:45], s[14:15]
	s_cbranch_execz .LBB17_39
.LBB17_55:                              ;   in Loop: Header=BB17_31 Depth=1
	ds_read_b32 v10, v3 offset:32796
	s_waitcnt lgkmcnt(0)
	v_add_u32_e32 v9, v10, v9
	s_or_b64 exec, exec, s[44:45]
	s_and_saveexec_b64 s[44:45], s[16:17]
	s_cbranch_execz .LBB17_40
.LBB17_56:                              ;   in Loop: Header=BB17_31 Depth=1
	ds_read_b32 v10, v3 offset:32800
	s_waitcnt lgkmcnt(0)
	v_add_u32_e32 v9, v10, v9
	s_or_b64 exec, exec, s[44:45]
	s_and_saveexec_b64 s[44:45], s[18:19]
	s_cbranch_execz .LBB17_41
.LBB17_57:                              ;   in Loop: Header=BB17_31 Depth=1
	ds_read_b32 v10, v3 offset:32804
	s_waitcnt lgkmcnt(0)
	v_add_u32_e32 v9, v10, v9
	s_or_b64 exec, exec, s[44:45]
	s_and_saveexec_b64 s[44:45], s[20:21]
	s_cbranch_execz .LBB17_42
.LBB17_58:                              ;   in Loop: Header=BB17_31 Depth=1
	ds_read_b32 v10, v3 offset:32808
	s_waitcnt lgkmcnt(0)
	v_add_u32_e32 v9, v10, v9
	s_or_b64 exec, exec, s[44:45]
	s_and_saveexec_b64 s[44:45], s[22:23]
	s_cbranch_execz .LBB17_43
.LBB17_59:                              ;   in Loop: Header=BB17_31 Depth=1
	ds_read_b32 v10, v3 offset:32812
	s_waitcnt lgkmcnt(0)
	v_add_u32_e32 v9, v10, v9
	s_or_b64 exec, exec, s[44:45]
	s_and_saveexec_b64 s[44:45], s[24:25]
	s_cbranch_execz .LBB17_44
.LBB17_60:                              ;   in Loop: Header=BB17_31 Depth=1
	ds_read_b32 v10, v3 offset:32816
	s_waitcnt lgkmcnt(0)
	v_add_u32_e32 v9, v10, v9
	s_or_b64 exec, exec, s[44:45]
	s_and_saveexec_b64 s[44:45], s[26:27]
	s_cbranch_execz .LBB17_45
.LBB17_61:                              ;   in Loop: Header=BB17_31 Depth=1
	ds_read_b32 v10, v3 offset:32820
	s_waitcnt lgkmcnt(0)
	v_add_u32_e32 v9, v10, v9
	s_or_b64 exec, exec, s[44:45]
	s_and_saveexec_b64 s[44:45], s[28:29]
	s_cbranch_execz .LBB17_46
.LBB17_62:                              ;   in Loop: Header=BB17_31 Depth=1
	ds_read_b32 v10, v3 offset:32824
	s_waitcnt lgkmcnt(0)
	v_add_u32_e32 v9, v10, v9
	s_or_b64 exec, exec, s[44:45]
	s_and_saveexec_b64 s[44:45], s[30:31]
	s_cbranch_execz .LBB17_47
.LBB17_63:                              ;   in Loop: Header=BB17_31 Depth=1
	v_lshlrev_b32_e32 v10, 2, v7
	v_add_u32_e32 v10, 0, v10
	v_lshlrev_b32_e32 v11, 2, v9
	v_add3_u32 v10, v10, v11, -4
	ds_write_b32 v10, v8
	s_or_b64 exec, exec, s[44:45]
	s_and_saveexec_b64 s[30:31], vcc
	s_cbranch_execz .LBB17_30
.LBB17_64:                              ;   in Loop: Header=BB17_31 Depth=1
	ds_write_b32 v3, v9 offset:32828
	s_branch .LBB17_30
.LBB17_65:
	s_or_b64 exec, exec, s[36:37]
	s_ashr_i32 s35, s34, 31
	s_lshl_b64 s[0:1], s[34:35], 2
	s_add_u32 s2, s40, s0
	s_addc_u32 s3, s41, s1
	s_load_dwordx2 s[0:1], s[2:3], 0x0
	s_waitcnt lgkmcnt(0)
	s_sub_i32 s6, s1, s0
	v_cmp_gt_i32_e32 vcc, s6, v0
	s_and_saveexec_b64 s[2:3], vcc
	s_cbranch_execz .LBB17_75
; %bb.66:
	s_sub_i32 s7, s0, s38
	s_and_b32 s8, s6, 7
	s_sub_i32 s0, s0, s1
	s_cmp_lt_u32 s0, -7
	s_cselect_b64 s[0:1], -1, 0
	s_and_b32 s9, s6, -8
	s_cmp_lg_u32 s8, 0
	v_cndmask_b32_e64 v1, 0, 1, s[0:1]
	s_cselect_b64 s[2:3], -1, 0
	v_cmp_ne_u32_e64 s[0:1], 1, v1
	v_cndmask_b32_e64 v1, 0, 1, s[2:3]
	s_mov_b64 s[4:5], 0
	v_cmp_ne_u32_e64 s[2:3], 1, v1
	v_mov_b32_e32 v3, s43
	s_branch .LBB17_68
.LBB17_67:                              ;   in Loop: Header=BB17_68 Depth=1
	s_waitcnt lgkmcnt(0)
	v_add_u32_e32 v4, s38, v2
	v_ashrrev_i32_e32 v2, 31, v1
	v_lshlrev_b64 v[1:2], 2, v[1:2]
	v_add_u32_e32 v0, 0x400, v0
	v_add_co_u32_e32 v1, vcc, s42, v1
	v_addc_co_u32_e32 v2, vcc, v3, v2, vcc
	v_cmp_le_i32_e32 vcc, s6, v0
	s_or_b64 s[4:5], vcc, s[4:5]
	global_store_dword v[1:2], v4, off
	s_andn2_b64 exec, exec, s[4:5]
	s_cbranch_execz .LBB17_75
.LBB17_68:                              ; =>This Loop Header: Depth=1
                                        ;     Child Loop BB17_70 Depth 2
                                        ;     Child Loop BB17_74 Depth 2
	v_lshl_add_u32 v1, v0, 2, 0
	ds_read_b32 v2, v1
	s_and_b64 vcc, exec, s[0:1]
	v_mov_b32_e32 v1, s7
	s_mov_b32 s10, 0
	s_cbranch_vccnz .LBB17_72
; %bb.69:                               ;   in Loop: Header=BB17_68 Depth=1
	s_mov_b32 s11, 0
	v_mov_b32_e32 v1, s7
.LBB17_70:                              ;   Parent Loop BB17_68 Depth=1
                                        ; =>  This Inner Loop Header: Depth=2
	v_mov_b32_e32 v10, s11
	ds_read2_b32 v[4:5], v10 offset1:1
	ds_read2_b32 v[6:7], v10 offset0:2 offset1:3
	ds_read2_b32 v[8:9], v10 offset0:4 offset1:5
	ds_read2_b32 v[10:11], v10 offset0:6 offset1:7
	s_add_i32 s10, s10, 8
	s_waitcnt lgkmcnt(3)
	v_cmp_gt_i32_e32 vcc, v2, v4
	v_cndmask_b32_e64 v4, 0, 1, vcc
	s_waitcnt lgkmcnt(2)
	v_cmp_gt_i32_e32 vcc, v2, v6
	v_cndmask_b32_e64 v6, 0, 1, vcc
	;; [unrolled: 3-line block ×4, first 2 shown]
	v_cmp_gt_i32_e32 vcc, v2, v5
	v_addc_co_u32_e32 v1, vcc, v1, v4, vcc
	v_cmp_gt_i32_e32 vcc, v2, v7
	v_addc_co_u32_e32 v1, vcc, v1, v6, vcc
	;; [unrolled: 2-line block ×3, first 2 shown]
	s_add_i32 s11, s11, 32
	v_cmp_gt_i32_e32 vcc, v2, v11
	s_cmp_eq_u32 s9, s10
	v_addc_co_u32_e32 v1, vcc, v1, v10, vcc
	s_cbranch_scc0 .LBB17_70
; %bb.71:                               ;   in Loop: Header=BB17_68 Depth=1
	s_mov_b32 s10, s9
.LBB17_72:                              ;   in Loop: Header=BB17_68 Depth=1
	s_and_b64 vcc, exec, s[2:3]
	s_cbranch_vccnz .LBB17_67
; %bb.73:                               ;   in Loop: Header=BB17_68 Depth=1
	s_lshl_b32 s10, s10, 2
	s_add_i32 s10, s10, 0
	s_mov_b32 s11, s8
.LBB17_74:                              ;   Parent Loop BB17_68 Depth=1
                                        ; =>  This Inner Loop Header: Depth=2
	v_mov_b32_e32 v4, s10
	ds_read_b32 v4, v4
	s_add_i32 s10, s10, 4
	s_add_i32 s11, s11, -1
	s_cmp_lg_u32 s11, 0
	s_waitcnt lgkmcnt(0)
	v_cmp_gt_i32_e32 vcc, v2, v4
	v_addc_co_u32_e32 v1, vcc, 0, v1, vcc
	s_cbranch_scc1 .LBB17_74
	s_branch .LBB17_67
.LBB17_75:
	s_endpgm
	.section	.rodata,"a",@progbits
	.p2align	6, 0x0
	.amdhsa_kernel _ZN9rocsparseL35csrgemm_symbolic_fill_block_per_rowILj1024ELj64ELj8192ELj137ELj64EiiEEvT5_PKS1_S3_PKT4_S3_S6_S3_S6_S3_S6_PS1_21rocsparse_index_base_S8_S8_S8_bb
		.amdhsa_group_segment_fixed_size 0
		.amdhsa_private_segment_fixed_size 0
		.amdhsa_kernarg_size 108
		.amdhsa_user_sgpr_count 6
		.amdhsa_user_sgpr_private_segment_buffer 1
		.amdhsa_user_sgpr_dispatch_ptr 0
		.amdhsa_user_sgpr_queue_ptr 0
		.amdhsa_user_sgpr_kernarg_segment_ptr 1
		.amdhsa_user_sgpr_dispatch_id 0
		.amdhsa_user_sgpr_flat_scratch_init 0
		.amdhsa_user_sgpr_private_segment_size 0
		.amdhsa_uses_dynamic_stack 0
		.amdhsa_system_sgpr_private_segment_wavefront_offset 0
		.amdhsa_system_sgpr_workgroup_id_x 1
		.amdhsa_system_sgpr_workgroup_id_y 0
		.amdhsa_system_sgpr_workgroup_id_z 0
		.amdhsa_system_sgpr_workgroup_info 0
		.amdhsa_system_vgpr_workitem_id 0
		.amdhsa_next_free_vgpr 13
		.amdhsa_next_free_sgpr 46
		.amdhsa_reserve_vcc 1
		.amdhsa_reserve_flat_scratch 0
		.amdhsa_float_round_mode_32 0
		.amdhsa_float_round_mode_16_64 0
		.amdhsa_float_denorm_mode_32 3
		.amdhsa_float_denorm_mode_16_64 3
		.amdhsa_dx10_clamp 1
		.amdhsa_ieee_mode 1
		.amdhsa_fp16_overflow 0
		.amdhsa_exception_fp_ieee_invalid_op 0
		.amdhsa_exception_fp_denorm_src 0
		.amdhsa_exception_fp_ieee_div_zero 0
		.amdhsa_exception_fp_ieee_overflow 0
		.amdhsa_exception_fp_ieee_underflow 0
		.amdhsa_exception_fp_ieee_inexact 0
		.amdhsa_exception_int_div_zero 0
	.end_amdhsa_kernel
	.section	.text._ZN9rocsparseL35csrgemm_symbolic_fill_block_per_rowILj1024ELj64ELj8192ELj137ELj64EiiEEvT5_PKS1_S3_PKT4_S3_S6_S3_S6_S3_S6_PS1_21rocsparse_index_base_S8_S8_S8_bb,"axG",@progbits,_ZN9rocsparseL35csrgemm_symbolic_fill_block_per_rowILj1024ELj64ELj8192ELj137ELj64EiiEEvT5_PKS1_S3_PKT4_S3_S6_S3_S6_S3_S6_PS1_21rocsparse_index_base_S8_S8_S8_bb,comdat
.Lfunc_end17:
	.size	_ZN9rocsparseL35csrgemm_symbolic_fill_block_per_rowILj1024ELj64ELj8192ELj137ELj64EiiEEvT5_PKS1_S3_PKT4_S3_S6_S3_S6_S3_S6_PS1_21rocsparse_index_base_S8_S8_S8_bb, .Lfunc_end17-_ZN9rocsparseL35csrgemm_symbolic_fill_block_per_rowILj1024ELj64ELj8192ELj137ELj64EiiEEvT5_PKS1_S3_PKT4_S3_S6_S3_S6_S3_S6_PS1_21rocsparse_index_base_S8_S8_S8_bb
                                        ; -- End function
	.set _ZN9rocsparseL35csrgemm_symbolic_fill_block_per_rowILj1024ELj64ELj8192ELj137ELj64EiiEEvT5_PKS1_S3_PKT4_S3_S6_S3_S6_S3_S6_PS1_21rocsparse_index_base_S8_S8_S8_bb.num_vgpr, 13
	.set _ZN9rocsparseL35csrgemm_symbolic_fill_block_per_rowILj1024ELj64ELj8192ELj137ELj64EiiEEvT5_PKS1_S3_PKT4_S3_S6_S3_S6_S3_S6_PS1_21rocsparse_index_base_S8_S8_S8_bb.num_agpr, 0
	.set _ZN9rocsparseL35csrgemm_symbolic_fill_block_per_rowILj1024ELj64ELj8192ELj137ELj64EiiEEvT5_PKS1_S3_PKT4_S3_S6_S3_S6_S3_S6_PS1_21rocsparse_index_base_S8_S8_S8_bb.numbered_sgpr, 46
	.set _ZN9rocsparseL35csrgemm_symbolic_fill_block_per_rowILj1024ELj64ELj8192ELj137ELj64EiiEEvT5_PKS1_S3_PKT4_S3_S6_S3_S6_S3_S6_PS1_21rocsparse_index_base_S8_S8_S8_bb.num_named_barrier, 0
	.set _ZN9rocsparseL35csrgemm_symbolic_fill_block_per_rowILj1024ELj64ELj8192ELj137ELj64EiiEEvT5_PKS1_S3_PKT4_S3_S6_S3_S6_S3_S6_PS1_21rocsparse_index_base_S8_S8_S8_bb.private_seg_size, 0
	.set _ZN9rocsparseL35csrgemm_symbolic_fill_block_per_rowILj1024ELj64ELj8192ELj137ELj64EiiEEvT5_PKS1_S3_PKT4_S3_S6_S3_S6_S3_S6_PS1_21rocsparse_index_base_S8_S8_S8_bb.uses_vcc, 1
	.set _ZN9rocsparseL35csrgemm_symbolic_fill_block_per_rowILj1024ELj64ELj8192ELj137ELj64EiiEEvT5_PKS1_S3_PKT4_S3_S6_S3_S6_S3_S6_PS1_21rocsparse_index_base_S8_S8_S8_bb.uses_flat_scratch, 0
	.set _ZN9rocsparseL35csrgemm_symbolic_fill_block_per_rowILj1024ELj64ELj8192ELj137ELj64EiiEEvT5_PKS1_S3_PKT4_S3_S6_S3_S6_S3_S6_PS1_21rocsparse_index_base_S8_S8_S8_bb.has_dyn_sized_stack, 0
	.set _ZN9rocsparseL35csrgemm_symbolic_fill_block_per_rowILj1024ELj64ELj8192ELj137ELj64EiiEEvT5_PKS1_S3_PKT4_S3_S6_S3_S6_S3_S6_PS1_21rocsparse_index_base_S8_S8_S8_bb.has_recursion, 0
	.set _ZN9rocsparseL35csrgemm_symbolic_fill_block_per_rowILj1024ELj64ELj8192ELj137ELj64EiiEEvT5_PKS1_S3_PKT4_S3_S6_S3_S6_S3_S6_PS1_21rocsparse_index_base_S8_S8_S8_bb.has_indirect_call, 0
	.section	.AMDGPU.csdata,"",@progbits
; Kernel info:
; codeLenInByte = 2476
; TotalNumSgprs: 50
; NumVgprs: 13
; ScratchSize: 0
; MemoryBound: 0
; FloatMode: 240
; IeeeMode: 1
; LDSByteSize: 0 bytes/workgroup (compile time only)
; SGPRBlocks: 6
; VGPRBlocks: 3
; NumSGPRsForWavesPerEU: 50
; NumVGPRsForWavesPerEU: 13
; Occupancy: 10
; WaveLimiterHint : 1
; COMPUTE_PGM_RSRC2:SCRATCH_EN: 0
; COMPUTE_PGM_RSRC2:USER_SGPR: 6
; COMPUTE_PGM_RSRC2:TRAP_HANDLER: 0
; COMPUTE_PGM_RSRC2:TGID_X_EN: 1
; COMPUTE_PGM_RSRC2:TGID_Y_EN: 0
; COMPUTE_PGM_RSRC2:TGID_Z_EN: 0
; COMPUTE_PGM_RSRC2:TIDIG_COMP_CNT: 0
	.section	.text._ZN9rocsparseL35csrgemm_symbolic_fill_block_per_rowILj1024ELj64ELj16384ELj137ELj32EiiEEvT5_PKS1_S3_PKT4_S3_S6_S3_S6_S3_S6_PS1_21rocsparse_index_base_S8_S8_S8_bb,"axG",@progbits,_ZN9rocsparseL35csrgemm_symbolic_fill_block_per_rowILj1024ELj64ELj16384ELj137ELj32EiiEEvT5_PKS1_S3_PKT4_S3_S6_S3_S6_S3_S6_PS1_21rocsparse_index_base_S8_S8_S8_bb,comdat
	.globl	_ZN9rocsparseL35csrgemm_symbolic_fill_block_per_rowILj1024ELj64ELj16384ELj137ELj32EiiEEvT5_PKS1_S3_PKT4_S3_S6_S3_S6_S3_S6_PS1_21rocsparse_index_base_S8_S8_S8_bb ; -- Begin function _ZN9rocsparseL35csrgemm_symbolic_fill_block_per_rowILj1024ELj64ELj16384ELj137ELj32EiiEEvT5_PKS1_S3_PKT4_S3_S6_S3_S6_S3_S6_PS1_21rocsparse_index_base_S8_S8_S8_bb
	.p2align	8
	.type	_ZN9rocsparseL35csrgemm_symbolic_fill_block_per_rowILj1024ELj64ELj16384ELj137ELj32EiiEEvT5_PKS1_S3_PKT4_S3_S6_S3_S6_S3_S6_PS1_21rocsparse_index_base_S8_S8_S8_bb,@function
_ZN9rocsparseL35csrgemm_symbolic_fill_block_per_rowILj1024ELj64ELj16384ELj137ELj32EiiEEvT5_PKS1_S3_PKT4_S3_S6_S3_S6_S3_S6_PS1_21rocsparse_index_base_S8_S8_S8_bb: ; @_ZN9rocsparseL35csrgemm_symbolic_fill_block_per_rowILj1024ELj64ELj16384ELj137ELj32EiiEEvT5_PKS1_S3_PKT4_S3_S6_S3_S6_S3_S6_PS1_21rocsparse_index_base_S8_S8_S8_bb
; %bb.0:
	s_load_dwordx4 s[36:39], s[4:5], 0x48
	s_load_dwordx8 s[8:15], s[4:5], 0x28
	s_load_dword s33, s[4:5], 0x0
	s_load_dwordx8 s[16:23], s[4:5], 0x8
	v_or_b32_e32 v4, 0xfffffc00, v0
	v_lshl_add_u32 v5, v0, 2, 0
	s_mov_b64 s[0:1], 0
	s_waitcnt lgkmcnt(0)
	v_mov_b32_e32 v1, s33
	s_movk_i32 s2, 0x3bff
	v_mov_b32_e32 v2, v5
	v_mov_b32_e32 v3, v4
.LBB18_1:                               ; =>This Inner Loop Header: Depth=1
	v_add_u32_e32 v3, 0x400, v3
	v_cmp_lt_u32_e32 vcc, s2, v3
	ds_write_b32 v2, v1
	s_or_b64 s[0:1], vcc, s[0:1]
	v_add_u32_e32 v2, 0x1000, v2
	s_andn2_b64 exec, exec, s[0:1]
	s_cbranch_execnz .LBB18_1
; %bb.2:
	s_or_b64 exec, exec, s[0:1]
	s_load_dword s28, s[4:5], 0x68
	s_waitcnt lgkmcnt(0)
	s_barrier
	s_load_dword s2, s[16:17], 0x0
	s_load_dwordx4 s[64:67], s[4:5], 0x58
	s_bitcmp1_b32 s28, 0
	s_cselect_b64 s[0:1], -1, 0
	s_mov_b32 s3, 0
	s_waitcnt lgkmcnt(0)
	s_add_i32 s2, s2, s6
	s_lshl_b64 s[2:3], s[2:3], 2
	s_add_u32 s2, s18, s2
	s_addc_u32 s3, s19, s3
	s_load_dword s2, s[2:3], 0x0
                                        ; implicit-def: $vgpr13 : SGPR spill to VGPR lane
	s_and_b64 vcc, exec, s[0:1]
	s_waitcnt lgkmcnt(0)
	v_writelane_b32 v13, s2, 0
	v_writelane_b32 v13, s3, 1
	s_cbranch_vccz .LBB18_18
; %bb.3:
	v_readlane_b32 s0, v13, 0
	v_readlane_b32 s1, v13, 1
	s_mov_b32 s2, s0
	s_ashr_i32 s3, s0, 31
	v_writelane_b32 v13, s0, 0
	v_writelane_b32 v13, s1, 1
	s_lshl_b64 s[0:1], s[2:3], 2
	s_add_u32 s0, s20, s0
	s_addc_u32 s1, s21, s1
	s_load_dwordx2 s[2:3], s[0:1], 0x0
	v_lshrrev_b32_e32 v1, 6, v0
	v_subrev_u32_e32 v1, s64, v1
	s_waitcnt lgkmcnt(0)
	s_sub_i32 s29, s3, s64
	v_add_u32_e32 v1, s2, v1
	v_cmp_gt_i32_e32 vcc, s29, v1
	s_and_saveexec_b64 s[0:1], vcc
	s_cbranch_execz .LBB18_17
; %bb.4:
	v_and_b32_e32 v2, 63, v0
	v_subrev_u32_e32 v6, s65, v2
	s_mov_b64 s[2:3], 0
	v_mov_b32_e32 v7, s23
	v_mov_b32_e32 v8, s9
	s_movk_i32 s9, 0x89
	s_branch .LBB18_6
.LBB18_5:                               ;   in Loop: Header=BB18_6 Depth=1
	s_or_b64 exec, exec, s[4:5]
	v_add_u32_e32 v1, 16, v1
	v_cmp_le_i32_e32 vcc, s29, v1
	s_or_b64 s[2:3], vcc, s[2:3]
	s_andn2_b64 exec, exec, s[2:3]
	s_cbranch_execz .LBB18_17
.LBB18_6:                               ; =>This Loop Header: Depth=1
                                        ;     Child Loop BB18_9 Depth 2
                                        ;       Child Loop BB18_12 Depth 3
	v_ashrrev_i32_e32 v2, 31, v1
	v_lshlrev_b64 v[2:3], 2, v[1:2]
	v_add_co_u32_e32 v2, vcc, s22, v2
	v_addc_co_u32_e32 v3, vcc, v7, v3, vcc
	global_load_dword v2, v[2:3], off
	s_waitcnt vmcnt(0)
	v_subrev_u32_e32 v2, s64, v2
	v_ashrrev_i32_e32 v3, 31, v2
	v_lshlrev_b64 v[2:3], 2, v[2:3]
	v_add_co_u32_e32 v2, vcc, s8, v2
	v_addc_co_u32_e32 v3, vcc, v8, v3, vcc
	global_load_dwordx2 v[2:3], v[2:3], off
	s_waitcnt vmcnt(0)
	v_subrev_u32_e32 v9, s65, v3
	v_add_u32_e32 v2, v2, v6
	v_cmp_lt_i32_e32 vcc, v2, v9
	s_and_saveexec_b64 s[4:5], vcc
	s_cbranch_execz .LBB18_5
; %bb.7:                                ;   in Loop: Header=BB18_6 Depth=1
	s_mov_b64 s[6:7], 0
	s_branch .LBB18_9
.LBB18_8:                               ;   in Loop: Header=BB18_9 Depth=2
	s_or_b64 exec, exec, s[16:17]
	v_add_u32_e32 v2, 64, v2
	v_cmp_ge_i32_e32 vcc, v2, v9
	s_or_b64 s[6:7], vcc, s[6:7]
	s_andn2_b64 exec, exec, s[6:7]
	s_cbranch_execz .LBB18_5
.LBB18_9:                               ;   Parent Loop BB18_6 Depth=1
                                        ; =>  This Loop Header: Depth=2
                                        ;       Child Loop BB18_12 Depth 3
	v_ashrrev_i32_e32 v3, 31, v2
	v_lshlrev_b64 v[10:11], 2, v[2:3]
	v_mov_b32_e32 v3, s11
	v_add_co_u32_e32 v10, vcc, s10, v10
	v_addc_co_u32_e32 v11, vcc, v3, v11, vcc
	global_load_dword v3, v[10:11], off
	s_mov_b64 s[16:17], 0
                                        ; implicit-def: $sgpr18_sgpr19
	s_waitcnt vmcnt(0)
	v_subrev_u32_e32 v3, s65, v3
	v_mul_lo_u32 v10, v3, s9
	v_and_b32_e32 v10, 0x3fff, v10
	s_branch .LBB18_12
.LBB18_10:                              ;   in Loop: Header=BB18_12 Depth=3
	s_or_b64 exec, exec, s[24:25]
	s_andn2_b64 s[18:19], s[18:19], exec
	s_and_b64 s[24:25], s[26:27], exec
	s_or_b64 s[18:19], s[18:19], s[24:25]
.LBB18_11:                              ;   in Loop: Header=BB18_12 Depth=3
	s_or_b64 exec, exec, s[20:21]
	s_xor_b64 s[20:21], s[18:19], -1
	s_and_b64 s[20:21], exec, s[20:21]
	s_or_b64 s[16:17], s[20:21], s[16:17]
	s_andn2_b64 exec, exec, s[16:17]
	s_cbranch_execz .LBB18_8
.LBB18_12:                              ;   Parent Loop BB18_6 Depth=1
                                        ;     Parent Loop BB18_9 Depth=2
                                        ; =>    This Inner Loop Header: Depth=3
	v_lshl_add_u32 v11, v10, 2, 0
	ds_read_b32 v12, v11
	s_andn2_b64 s[18:19], s[18:19], exec
	s_waitcnt lgkmcnt(0)
	v_cmp_ne_u32_e32 vcc, v12, v3
	s_and_saveexec_b64 s[20:21], vcc
	s_cbranch_execz .LBB18_11
; %bb.13:                               ;   in Loop: Header=BB18_12 Depth=3
	v_cmp_ne_u32_e32 vcc, s33, v12
	s_and_saveexec_b64 s[24:25], vcc
	s_xor_b64 s[24:25], exec, s[24:25]
; %bb.14:                               ;   in Loop: Header=BB18_12 Depth=3
	v_add_u32_e32 v10, 1, v10
	v_and_b32_e32 v10, 0x3fff, v10
                                        ; implicit-def: $vgpr11
; %bb.15:                               ;   in Loop: Header=BB18_12 Depth=3
	s_or_saveexec_b64 s[24:25], s[24:25]
	s_mov_b64 s[26:27], -1
	s_xor_b64 exec, exec, s[24:25]
	s_cbranch_execz .LBB18_10
; %bb.16:                               ;   in Loop: Header=BB18_12 Depth=3
	v_mov_b32_e32 v12, s33
	ds_cmpst_rtn_b32 v11, v11, v12, v3
	s_waitcnt lgkmcnt(0)
	v_cmp_ne_u32_e32 vcc, s33, v11
	s_orn2_b64 s[26:27], vcc, exec
	s_branch .LBB18_10
.LBB18_17:
	s_or_b64 exec, exec, s[0:1]
.LBB18_18:
	s_bfe_u32 s0, s28, 0x10008
	s_cmp_eq_u32 s0, 0
	s_cbranch_scc1 .LBB18_31
; %bb.19:
	v_readlane_b32 s0, v13, 0
	v_readlane_b32 s1, v13, 1
	s_mov_b32 s2, s0
	s_ashr_i32 s3, s0, 31
	v_writelane_b32 v13, s0, 0
	v_writelane_b32 v13, s1, 1
	s_lshl_b64 s[0:1], s[2:3], 2
	s_add_u32 s0, s12, s0
	s_addc_u32 s1, s13, s1
	s_load_dwordx2 s[2:3], s[0:1], 0x0
	v_subrev_u32_e32 v1, s67, v0
	s_waitcnt lgkmcnt(0)
	s_sub_i32 s16, s3, s67
	v_add_u32_e32 v1, s2, v1
	v_cmp_gt_i32_e32 vcc, s16, v1
	s_and_saveexec_b64 s[0:1], vcc
	s_cbranch_execz .LBB18_30
; %bb.20:
	s_mov_b64 s[2:3], 0
	v_mov_b32_e32 v3, s15
	s_movk_i32 s15, 0x89
	s_branch .LBB18_22
.LBB18_21:                              ;   in Loop: Header=BB18_22 Depth=1
	s_or_b64 exec, exec, s[4:5]
	v_add_u32_e32 v1, 0x400, v1
	v_cmp_le_i32_e32 vcc, s16, v1
	s_or_b64 s[2:3], vcc, s[2:3]
	s_andn2_b64 exec, exec, s[2:3]
	s_cbranch_execz .LBB18_30
.LBB18_22:                              ; =>This Loop Header: Depth=1
                                        ;     Child Loop BB18_25 Depth 2
	v_ashrrev_i32_e32 v2, 31, v1
	v_lshlrev_b64 v[6:7], 2, v[1:2]
	s_mov_b64 s[4:5], 0
	v_add_co_u32_e32 v6, vcc, s14, v6
	v_addc_co_u32_e32 v7, vcc, v3, v7, vcc
	global_load_dword v2, v[6:7], off
                                        ; implicit-def: $sgpr6_sgpr7
	s_waitcnt vmcnt(0)
	v_subrev_u32_e32 v2, s67, v2
	v_mul_lo_u32 v6, v2, s15
	v_and_b32_e32 v6, 0x3fff, v6
	s_branch .LBB18_25
.LBB18_23:                              ;   in Loop: Header=BB18_25 Depth=2
	s_or_b64 exec, exec, s[10:11]
	s_andn2_b64 s[6:7], s[6:7], exec
	s_and_b64 s[10:11], s[12:13], exec
	s_or_b64 s[6:7], s[6:7], s[10:11]
.LBB18_24:                              ;   in Loop: Header=BB18_25 Depth=2
	s_or_b64 exec, exec, s[8:9]
	s_xor_b64 s[8:9], s[6:7], -1
	s_and_b64 s[8:9], exec, s[8:9]
	s_or_b64 s[4:5], s[8:9], s[4:5]
	s_andn2_b64 exec, exec, s[4:5]
	s_cbranch_execz .LBB18_21
.LBB18_25:                              ;   Parent Loop BB18_22 Depth=1
                                        ; =>  This Inner Loop Header: Depth=2
	v_lshl_add_u32 v7, v6, 2, 0
	ds_read_b32 v8, v7
	s_andn2_b64 s[6:7], s[6:7], exec
	s_waitcnt lgkmcnt(0)
	v_cmp_ne_u32_e32 vcc, v8, v2
	s_and_saveexec_b64 s[8:9], vcc
	s_cbranch_execz .LBB18_24
; %bb.26:                               ;   in Loop: Header=BB18_25 Depth=2
	v_cmp_ne_u32_e32 vcc, s33, v8
	s_and_saveexec_b64 s[10:11], vcc
	s_xor_b64 s[10:11], exec, s[10:11]
; %bb.27:                               ;   in Loop: Header=BB18_25 Depth=2
	v_add_u32_e32 v6, 1, v6
	v_and_b32_e32 v6, 0x3fff, v6
                                        ; implicit-def: $vgpr7
; %bb.28:                               ;   in Loop: Header=BB18_25 Depth=2
	s_or_saveexec_b64 s[10:11], s[10:11]
	s_mov_b64 s[12:13], -1
	s_xor_b64 exec, exec, s[10:11]
	s_cbranch_execz .LBB18_23
; %bb.29:                               ;   in Loop: Header=BB18_25 Depth=2
	v_mov_b32_e32 v8, s33
	ds_cmpst_rtn_b32 v7, v7, v8, v2
	s_waitcnt lgkmcnt(0)
	v_cmp_ne_u32_e32 vcc, s33, v7
	s_orn2_b64 s[12:13], vcc, exec
	s_branch .LBB18_23
.LBB18_30:
	s_or_b64 exec, exec, s[0:1]
.LBB18_31:
	v_writelane_b32 v13, s36, 2
	v_writelane_b32 v13, s37, 3
	;; [unrolled: 1-line block ×4, first 2 shown]
	s_add_i32 s0, 0, 0x10000
	v_writelane_b32 v13, s0, 6
	s_add_i32 s60, 0, 0x10004
	v_writelane_b32 v13, s60, 7
	;; [unrolled: 2-line block ×4, first 2 shown]
	s_add_i32 s60, 0, 0x10010
	v_mbcnt_lo_u32_b32 v1, -1, 0
	v_lshrrev_b32_e32 v3, 3, v0
	v_writelane_b32 v13, s60, 10
	s_add_i32 s60, 0, 0x10014
	v_mbcnt_hi_u32_b32 v1, -1, v1
	v_and_b32_e32 v3, 0x7c, v3
	v_writelane_b32 v13, s60, 11
	s_add_i32 s60, 0, 0x10018
	v_sub_u32_e32 v1, 63, v1
	v_add_u32_e32 v3, s0, v3
	s_movk_i32 s0, 0x3ff
	v_writelane_b32 v13, s60, 12
	s_add_i32 s60, 0, 0x1001c
	v_lshrrev_b64 v[1:2], v1, -1
	v_cmp_eq_u32_e32 vcc, s0, v0
	s_movk_i32 s0, 0x5f
	s_movk_i32 s2, 0x7f
	;; [unrolled: 1-line block ×29, first 2 shown]
	v_writelane_b32 v13, s60, 13
	s_add_i32 s60, 0, 0x10024
	v_cmp_lt_u32_e64 s[0:1], s0, v0
	v_cmp_lt_u32_e64 s[2:3], s2, v0
	;; [unrolled: 1-line block ×28, first 2 shown]
	v_mov_b32_e32 v6, 0
	v_cmp_lt_u32_e64 s[58:59], s58, v0
	s_add_i32 s83, 0, 0x10020
	v_writelane_b32 v13, s60, 14
	s_add_i32 s86, 0, 0x10028
	s_add_i32 s87, 0, 0x1002c
	s_add_i32 s88, 0, 0x10030
	s_add_i32 s89, 0, 0x10034
	s_add_i32 s90, 0, 0x10038
	s_add_i32 s91, 0, 0x1003c
	s_add_i32 s92, 0, 0x10040
	s_add_i32 s93, 0, 0x10044
	s_add_i32 s94, 0, 0x10048
	s_add_i32 s95, 0, 0x1004c
	s_add_i32 s72, 0, 0x10050
	s_add_i32 s68, 0, 0x10054
	s_add_i32 s69, 0, 0x10058
	s_add_i32 s70, 0, 0x1005c
	s_add_i32 s71, 0, 0x10060
	s_add_i32 s67, 0, 0x10064
	s_add_i32 s73, 0, 0x10068
	s_add_i32 s78, 0, 0x1006c
	s_add_i32 s79, 0, 0x10070
	s_add_i32 s80, 0, 0x10074
	s_add_i32 s81, 0, 0x10078
	s_add_i32 s82, 0, 0x1007c
	v_cmp_lt_u32_e64 s[60:61], 31, v0
	v_cmp_lt_u32_e64 s[62:63], 63, v0
	s_mov_b64 s[74:75], 0
	s_barrier
	s_branch .LBB18_33
.LBB18_32:                              ;   in Loop: Header=BB18_33 Depth=1
	s_or_b64 exec, exec, s[64:65]
	v_mov_b32_e32 v7, s82
	s_waitcnt lgkmcnt(0)
	s_barrier
	ds_read_b32 v7, v7
	v_add_u32_e32 v4, 0x400, v4
	s_movk_i32 s64, 0x3bff
	v_cmp_lt_u32_e64 s[64:65], s64, v4
	s_or_b64 s[74:75], s[64:65], s[74:75]
	s_waitcnt lgkmcnt(0)
	v_add_u32_e32 v6, v7, v6
	v_add_u32_e32 v5, 0x1000, v5
	s_andn2_b64 exec, exec, s[74:75]
	s_cbranch_execz .LBB18_99
.LBB18_33:                              ; =>This Inner Loop Header: Depth=1
	ds_read_b32 v7, v5
	s_waitcnt lgkmcnt(0)
	s_barrier
	v_cmp_gt_i32_e64 s[64:65], s33, v7
	v_and_b32_e32 v9, s64, v1
	s_bcnt1_i32_b64 s76, s[64:65]
	v_and_b32_e32 v8, s65, v2
	v_bcnt_u32_b32 v9, v9, 0
	v_bcnt_u32_b32 v8, v8, v9
	v_mov_b32_e32 v9, s76
	ds_write_b32 v3, v9
	s_waitcnt lgkmcnt(0)
	s_barrier
	s_and_saveexec_b64 s[76:77], s[60:61]
	s_cbranch_execnz .LBB18_66
; %bb.34:                               ;   in Loop: Header=BB18_33 Depth=1
	s_or_b64 exec, exec, s[76:77]
	s_and_saveexec_b64 s[76:77], s[62:63]
	s_cbranch_execnz .LBB18_67
.LBB18_35:                              ;   in Loop: Header=BB18_33 Depth=1
	s_or_b64 exec, exec, s[76:77]
	s_and_saveexec_b64 s[76:77], s[0:1]
	s_cbranch_execnz .LBB18_68
.LBB18_36:                              ;   in Loop: Header=BB18_33 Depth=1
	s_or_b64 exec, exec, s[76:77]
	s_and_saveexec_b64 s[76:77], s[2:3]
	s_cbranch_execnz .LBB18_69
.LBB18_37:                              ;   in Loop: Header=BB18_33 Depth=1
	s_or_b64 exec, exec, s[76:77]
	s_and_saveexec_b64 s[76:77], s[4:5]
	s_cbranch_execnz .LBB18_70
.LBB18_38:                              ;   in Loop: Header=BB18_33 Depth=1
	s_or_b64 exec, exec, s[76:77]
	s_and_saveexec_b64 s[76:77], s[6:7]
	s_cbranch_execnz .LBB18_71
.LBB18_39:                              ;   in Loop: Header=BB18_33 Depth=1
	s_or_b64 exec, exec, s[76:77]
	s_and_saveexec_b64 s[76:77], s[8:9]
	s_cbranch_execnz .LBB18_72
.LBB18_40:                              ;   in Loop: Header=BB18_33 Depth=1
	s_or_b64 exec, exec, s[76:77]
	s_and_saveexec_b64 s[76:77], s[10:11]
	s_cbranch_execnz .LBB18_73
.LBB18_41:                              ;   in Loop: Header=BB18_33 Depth=1
	s_or_b64 exec, exec, s[76:77]
	s_and_saveexec_b64 s[76:77], s[12:13]
	s_cbranch_execnz .LBB18_74
.LBB18_42:                              ;   in Loop: Header=BB18_33 Depth=1
	s_or_b64 exec, exec, s[76:77]
	s_and_saveexec_b64 s[76:77], s[14:15]
	s_cbranch_execnz .LBB18_75
.LBB18_43:                              ;   in Loop: Header=BB18_33 Depth=1
	s_or_b64 exec, exec, s[76:77]
	s_and_saveexec_b64 s[76:77], s[16:17]
	s_cbranch_execnz .LBB18_76
.LBB18_44:                              ;   in Loop: Header=BB18_33 Depth=1
	s_or_b64 exec, exec, s[76:77]
	s_and_saveexec_b64 s[76:77], s[18:19]
	s_cbranch_execnz .LBB18_77
.LBB18_45:                              ;   in Loop: Header=BB18_33 Depth=1
	s_or_b64 exec, exec, s[76:77]
	s_and_saveexec_b64 s[76:77], s[20:21]
	s_cbranch_execnz .LBB18_78
.LBB18_46:                              ;   in Loop: Header=BB18_33 Depth=1
	s_or_b64 exec, exec, s[76:77]
	s_and_saveexec_b64 s[76:77], s[22:23]
	s_cbranch_execnz .LBB18_79
.LBB18_47:                              ;   in Loop: Header=BB18_33 Depth=1
	s_or_b64 exec, exec, s[76:77]
	s_and_saveexec_b64 s[76:77], s[24:25]
	s_cbranch_execnz .LBB18_80
.LBB18_48:                              ;   in Loop: Header=BB18_33 Depth=1
	s_or_b64 exec, exec, s[76:77]
	s_and_saveexec_b64 s[76:77], s[26:27]
	s_cbranch_execnz .LBB18_81
.LBB18_49:                              ;   in Loop: Header=BB18_33 Depth=1
	s_or_b64 exec, exec, s[76:77]
	s_and_saveexec_b64 s[76:77], s[28:29]
	s_cbranch_execnz .LBB18_82
.LBB18_50:                              ;   in Loop: Header=BB18_33 Depth=1
	s_or_b64 exec, exec, s[76:77]
	s_and_saveexec_b64 s[76:77], s[30:31]
	s_cbranch_execnz .LBB18_83
.LBB18_51:                              ;   in Loop: Header=BB18_33 Depth=1
	s_or_b64 exec, exec, s[76:77]
	s_and_saveexec_b64 s[76:77], s[34:35]
	s_cbranch_execnz .LBB18_84
.LBB18_52:                              ;   in Loop: Header=BB18_33 Depth=1
	s_or_b64 exec, exec, s[76:77]
	s_and_saveexec_b64 s[76:77], s[36:37]
	s_cbranch_execnz .LBB18_85
.LBB18_53:                              ;   in Loop: Header=BB18_33 Depth=1
	s_or_b64 exec, exec, s[76:77]
	s_and_saveexec_b64 s[76:77], s[38:39]
	s_cbranch_execnz .LBB18_86
.LBB18_54:                              ;   in Loop: Header=BB18_33 Depth=1
	s_or_b64 exec, exec, s[76:77]
	s_and_saveexec_b64 s[76:77], s[40:41]
	s_cbranch_execnz .LBB18_87
.LBB18_55:                              ;   in Loop: Header=BB18_33 Depth=1
	s_or_b64 exec, exec, s[76:77]
	s_and_saveexec_b64 s[76:77], s[42:43]
	s_cbranch_execnz .LBB18_88
.LBB18_56:                              ;   in Loop: Header=BB18_33 Depth=1
	s_or_b64 exec, exec, s[76:77]
	s_and_saveexec_b64 s[76:77], s[44:45]
	s_cbranch_execnz .LBB18_89
.LBB18_57:                              ;   in Loop: Header=BB18_33 Depth=1
	s_or_b64 exec, exec, s[76:77]
	s_and_saveexec_b64 s[76:77], s[46:47]
	s_cbranch_execnz .LBB18_90
.LBB18_58:                              ;   in Loop: Header=BB18_33 Depth=1
	s_or_b64 exec, exec, s[76:77]
	s_and_saveexec_b64 s[76:77], s[48:49]
	s_cbranch_execnz .LBB18_91
.LBB18_59:                              ;   in Loop: Header=BB18_33 Depth=1
	s_or_b64 exec, exec, s[76:77]
	s_and_saveexec_b64 s[76:77], s[50:51]
	s_cbranch_execnz .LBB18_92
.LBB18_60:                              ;   in Loop: Header=BB18_33 Depth=1
	s_or_b64 exec, exec, s[76:77]
	s_and_saveexec_b64 s[76:77], s[52:53]
	s_cbranch_execnz .LBB18_93
.LBB18_61:                              ;   in Loop: Header=BB18_33 Depth=1
	s_or_b64 exec, exec, s[76:77]
	s_and_saveexec_b64 s[76:77], s[54:55]
	s_cbranch_execnz .LBB18_94
.LBB18_62:                              ;   in Loop: Header=BB18_33 Depth=1
	s_or_b64 exec, exec, s[76:77]
	s_and_saveexec_b64 s[76:77], s[56:57]
	s_cbranch_execnz .LBB18_95
.LBB18_63:                              ;   in Loop: Header=BB18_33 Depth=1
	s_or_b64 exec, exec, s[76:77]
	s_and_saveexec_b64 s[76:77], s[58:59]
	s_cbranch_execnz .LBB18_96
.LBB18_64:                              ;   in Loop: Header=BB18_33 Depth=1
	s_or_b64 exec, exec, s[76:77]
	s_and_saveexec_b64 s[76:77], s[64:65]
	s_cbranch_execnz .LBB18_97
.LBB18_65:                              ;   in Loop: Header=BB18_33 Depth=1
	s_or_b64 exec, exec, s[76:77]
	s_and_saveexec_b64 s[64:65], vcc
	s_cbranch_execz .LBB18_32
	s_branch .LBB18_98
.LBB18_66:                              ;   in Loop: Header=BB18_33 Depth=1
	v_readlane_b32 s84, v13, 6
	v_mov_b32_e32 v9, s84
	ds_read_b32 v9, v9
	s_waitcnt lgkmcnt(0)
	v_add_u32_e32 v8, v9, v8
	s_or_b64 exec, exec, s[76:77]
	s_and_saveexec_b64 s[76:77], s[62:63]
	s_cbranch_execz .LBB18_35
.LBB18_67:                              ;   in Loop: Header=BB18_33 Depth=1
	v_readlane_b32 s84, v13, 7
	v_mov_b32_e32 v9, s84
	ds_read_b32 v9, v9
	s_waitcnt lgkmcnt(0)
	v_add_u32_e32 v8, v9, v8
	s_or_b64 exec, exec, s[76:77]
	s_and_saveexec_b64 s[76:77], s[0:1]
	s_cbranch_execz .LBB18_36
.LBB18_68:                              ;   in Loop: Header=BB18_33 Depth=1
	v_readlane_b32 s84, v13, 8
	v_mov_b32_e32 v9, s84
	ds_read_b32 v9, v9
	s_waitcnt lgkmcnt(0)
	v_add_u32_e32 v8, v9, v8
	s_or_b64 exec, exec, s[76:77]
	s_and_saveexec_b64 s[76:77], s[2:3]
	s_cbranch_execz .LBB18_37
.LBB18_69:                              ;   in Loop: Header=BB18_33 Depth=1
	v_readlane_b32 s84, v13, 9
	v_mov_b32_e32 v9, s84
	ds_read_b32 v9, v9
	s_waitcnt lgkmcnt(0)
	v_add_u32_e32 v8, v9, v8
	s_or_b64 exec, exec, s[76:77]
	s_and_saveexec_b64 s[76:77], s[4:5]
	s_cbranch_execz .LBB18_38
.LBB18_70:                              ;   in Loop: Header=BB18_33 Depth=1
	v_readlane_b32 s84, v13, 10
	v_mov_b32_e32 v9, s84
	ds_read_b32 v9, v9
	s_waitcnt lgkmcnt(0)
	v_add_u32_e32 v8, v9, v8
	s_or_b64 exec, exec, s[76:77]
	s_and_saveexec_b64 s[76:77], s[6:7]
	s_cbranch_execz .LBB18_39
.LBB18_71:                              ;   in Loop: Header=BB18_33 Depth=1
	v_readlane_b32 s84, v13, 11
	v_mov_b32_e32 v9, s84
	ds_read_b32 v9, v9
	s_waitcnt lgkmcnt(0)
	v_add_u32_e32 v8, v9, v8
	s_or_b64 exec, exec, s[76:77]
	s_and_saveexec_b64 s[76:77], s[8:9]
	s_cbranch_execz .LBB18_40
.LBB18_72:                              ;   in Loop: Header=BB18_33 Depth=1
	v_readlane_b32 s84, v13, 12
	v_mov_b32_e32 v9, s84
	ds_read_b32 v9, v9
	s_waitcnt lgkmcnt(0)
	v_add_u32_e32 v8, v9, v8
	s_or_b64 exec, exec, s[76:77]
	s_and_saveexec_b64 s[76:77], s[10:11]
	s_cbranch_execz .LBB18_41
.LBB18_73:                              ;   in Loop: Header=BB18_33 Depth=1
	v_readlane_b32 s84, v13, 13
	v_mov_b32_e32 v9, s84
	ds_read_b32 v9, v9
	s_waitcnt lgkmcnt(0)
	v_add_u32_e32 v8, v9, v8
	s_or_b64 exec, exec, s[76:77]
	s_and_saveexec_b64 s[76:77], s[12:13]
	s_cbranch_execz .LBB18_42
.LBB18_74:                              ;   in Loop: Header=BB18_33 Depth=1
	v_mov_b32_e32 v9, s83
	ds_read_b32 v9, v9
	s_waitcnt lgkmcnt(0)
	v_add_u32_e32 v8, v9, v8
	s_or_b64 exec, exec, s[76:77]
	s_and_saveexec_b64 s[76:77], s[14:15]
	s_cbranch_execz .LBB18_43
.LBB18_75:                              ;   in Loop: Header=BB18_33 Depth=1
	v_readlane_b32 s84, v13, 14
	v_mov_b32_e32 v9, s84
	ds_read_b32 v9, v9
	s_waitcnt lgkmcnt(0)
	v_add_u32_e32 v8, v9, v8
	s_or_b64 exec, exec, s[76:77]
	s_and_saveexec_b64 s[76:77], s[16:17]
	s_cbranch_execz .LBB18_44
.LBB18_76:                              ;   in Loop: Header=BB18_33 Depth=1
	v_mov_b32_e32 v9, s86
	ds_read_b32 v9, v9
	s_waitcnt lgkmcnt(0)
	v_add_u32_e32 v8, v9, v8
	s_or_b64 exec, exec, s[76:77]
	s_and_saveexec_b64 s[76:77], s[18:19]
	s_cbranch_execz .LBB18_45
.LBB18_77:                              ;   in Loop: Header=BB18_33 Depth=1
	v_mov_b32_e32 v9, s87
	ds_read_b32 v9, v9
	s_waitcnt lgkmcnt(0)
	v_add_u32_e32 v8, v9, v8
	s_or_b64 exec, exec, s[76:77]
	s_and_saveexec_b64 s[76:77], s[20:21]
	s_cbranch_execz .LBB18_46
.LBB18_78:                              ;   in Loop: Header=BB18_33 Depth=1
	v_mov_b32_e32 v9, s88
	ds_read_b32 v9, v9
	s_waitcnt lgkmcnt(0)
	v_add_u32_e32 v8, v9, v8
	s_or_b64 exec, exec, s[76:77]
	s_and_saveexec_b64 s[76:77], s[22:23]
	s_cbranch_execz .LBB18_47
.LBB18_79:                              ;   in Loop: Header=BB18_33 Depth=1
	v_mov_b32_e32 v9, s89
	ds_read_b32 v9, v9
	s_waitcnt lgkmcnt(0)
	v_add_u32_e32 v8, v9, v8
	s_or_b64 exec, exec, s[76:77]
	s_and_saveexec_b64 s[76:77], s[24:25]
	s_cbranch_execz .LBB18_48
.LBB18_80:                              ;   in Loop: Header=BB18_33 Depth=1
	v_mov_b32_e32 v9, s90
	ds_read_b32 v9, v9
	s_waitcnt lgkmcnt(0)
	v_add_u32_e32 v8, v9, v8
	s_or_b64 exec, exec, s[76:77]
	s_and_saveexec_b64 s[76:77], s[26:27]
	s_cbranch_execz .LBB18_49
.LBB18_81:                              ;   in Loop: Header=BB18_33 Depth=1
	v_mov_b32_e32 v9, s91
	ds_read_b32 v9, v9
	s_waitcnt lgkmcnt(0)
	v_add_u32_e32 v8, v9, v8
	s_or_b64 exec, exec, s[76:77]
	s_and_saveexec_b64 s[76:77], s[28:29]
	s_cbranch_execz .LBB18_50
.LBB18_82:                              ;   in Loop: Header=BB18_33 Depth=1
	v_mov_b32_e32 v9, s92
	ds_read_b32 v9, v9
	s_waitcnt lgkmcnt(0)
	v_add_u32_e32 v8, v9, v8
	s_or_b64 exec, exec, s[76:77]
	s_and_saveexec_b64 s[76:77], s[30:31]
	s_cbranch_execz .LBB18_51
.LBB18_83:                              ;   in Loop: Header=BB18_33 Depth=1
	v_mov_b32_e32 v9, s93
	ds_read_b32 v9, v9
	s_waitcnt lgkmcnt(0)
	v_add_u32_e32 v8, v9, v8
	s_or_b64 exec, exec, s[76:77]
	s_and_saveexec_b64 s[76:77], s[34:35]
	s_cbranch_execz .LBB18_52
.LBB18_84:                              ;   in Loop: Header=BB18_33 Depth=1
	v_mov_b32_e32 v9, s94
	ds_read_b32 v9, v9
	s_waitcnt lgkmcnt(0)
	v_add_u32_e32 v8, v9, v8
	s_or_b64 exec, exec, s[76:77]
	s_and_saveexec_b64 s[76:77], s[36:37]
	s_cbranch_execz .LBB18_53
.LBB18_85:                              ;   in Loop: Header=BB18_33 Depth=1
	v_mov_b32_e32 v9, s95
	ds_read_b32 v9, v9
	s_waitcnt lgkmcnt(0)
	v_add_u32_e32 v8, v9, v8
	s_or_b64 exec, exec, s[76:77]
	s_and_saveexec_b64 s[76:77], s[38:39]
	s_cbranch_execz .LBB18_54
.LBB18_86:                              ;   in Loop: Header=BB18_33 Depth=1
	v_mov_b32_e32 v9, s72
	ds_read_b32 v9, v9
	s_waitcnt lgkmcnt(0)
	v_add_u32_e32 v8, v9, v8
	s_or_b64 exec, exec, s[76:77]
	s_and_saveexec_b64 s[76:77], s[40:41]
	s_cbranch_execz .LBB18_55
.LBB18_87:                              ;   in Loop: Header=BB18_33 Depth=1
	v_mov_b32_e32 v9, s68
	ds_read_b32 v9, v9
	s_waitcnt lgkmcnt(0)
	v_add_u32_e32 v8, v9, v8
	s_or_b64 exec, exec, s[76:77]
	s_and_saveexec_b64 s[76:77], s[42:43]
	s_cbranch_execz .LBB18_56
.LBB18_88:                              ;   in Loop: Header=BB18_33 Depth=1
	v_mov_b32_e32 v9, s69
	ds_read_b32 v9, v9
	s_waitcnt lgkmcnt(0)
	v_add_u32_e32 v8, v9, v8
	s_or_b64 exec, exec, s[76:77]
	s_and_saveexec_b64 s[76:77], s[44:45]
	s_cbranch_execz .LBB18_57
.LBB18_89:                              ;   in Loop: Header=BB18_33 Depth=1
	v_mov_b32_e32 v9, s70
	ds_read_b32 v9, v9
	s_waitcnt lgkmcnt(0)
	v_add_u32_e32 v8, v9, v8
	s_or_b64 exec, exec, s[76:77]
	s_and_saveexec_b64 s[76:77], s[46:47]
	s_cbranch_execz .LBB18_58
.LBB18_90:                              ;   in Loop: Header=BB18_33 Depth=1
	v_mov_b32_e32 v9, s71
	ds_read_b32 v9, v9
	s_waitcnt lgkmcnt(0)
	v_add_u32_e32 v8, v9, v8
	s_or_b64 exec, exec, s[76:77]
	s_and_saveexec_b64 s[76:77], s[48:49]
	s_cbranch_execz .LBB18_59
.LBB18_91:                              ;   in Loop: Header=BB18_33 Depth=1
	v_mov_b32_e32 v9, s67
	ds_read_b32 v9, v9
	s_waitcnt lgkmcnt(0)
	v_add_u32_e32 v8, v9, v8
	s_or_b64 exec, exec, s[76:77]
	s_and_saveexec_b64 s[76:77], s[50:51]
	s_cbranch_execz .LBB18_60
.LBB18_92:                              ;   in Loop: Header=BB18_33 Depth=1
	v_mov_b32_e32 v9, s73
	ds_read_b32 v9, v9
	s_waitcnt lgkmcnt(0)
	v_add_u32_e32 v8, v9, v8
	s_or_b64 exec, exec, s[76:77]
	s_and_saveexec_b64 s[76:77], s[52:53]
	s_cbranch_execz .LBB18_61
.LBB18_93:                              ;   in Loop: Header=BB18_33 Depth=1
	v_mov_b32_e32 v9, s78
	ds_read_b32 v9, v9
	s_waitcnt lgkmcnt(0)
	v_add_u32_e32 v8, v9, v8
	s_or_b64 exec, exec, s[76:77]
	s_and_saveexec_b64 s[76:77], s[54:55]
	s_cbranch_execz .LBB18_62
.LBB18_94:                              ;   in Loop: Header=BB18_33 Depth=1
	v_mov_b32_e32 v9, s79
	ds_read_b32 v9, v9
	s_waitcnt lgkmcnt(0)
	v_add_u32_e32 v8, v9, v8
	s_or_b64 exec, exec, s[76:77]
	s_and_saveexec_b64 s[76:77], s[56:57]
	s_cbranch_execz .LBB18_63
.LBB18_95:                              ;   in Loop: Header=BB18_33 Depth=1
	v_mov_b32_e32 v9, s80
	ds_read_b32 v9, v9
	s_waitcnt lgkmcnt(0)
	v_add_u32_e32 v8, v9, v8
	s_or_b64 exec, exec, s[76:77]
	s_and_saveexec_b64 s[76:77], s[58:59]
	s_cbranch_execz .LBB18_64
.LBB18_96:                              ;   in Loop: Header=BB18_33 Depth=1
	v_mov_b32_e32 v9, s81
	ds_read_b32 v9, v9
	s_waitcnt lgkmcnt(0)
	v_add_u32_e32 v8, v9, v8
	s_or_b64 exec, exec, s[76:77]
	s_and_saveexec_b64 s[76:77], s[64:65]
	s_cbranch_execz .LBB18_65
.LBB18_97:                              ;   in Loop: Header=BB18_33 Depth=1
	v_lshlrev_b32_e32 v9, 2, v6
	v_add_u32_e32 v9, 0, v9
	v_lshlrev_b32_e32 v10, 2, v8
	v_add3_u32 v9, v9, v10, -4
	ds_write_b32 v9, v7
	s_or_b64 exec, exec, s[76:77]
	s_and_saveexec_b64 s[64:65], vcc
	s_cbranch_execz .LBB18_32
.LBB18_98:                              ;   in Loop: Header=BB18_33 Depth=1
	v_mov_b32_e32 v7, s82
	ds_write_b32 v7, v8
	s_branch .LBB18_32
.LBB18_99:
	s_or_b64 exec, exec, s[74:75]
	v_readlane_b32 s0, v13, 0
	v_readlane_b32 s1, v13, 1
	s_ashr_i32 s1, s0, 31
	s_lshl_b64 s[0:1], s[0:1], 2
	v_readlane_b32 s12, v13, 2
	v_readlane_b32 s13, v13, 3
	s_add_u32 s2, s12, s0
	s_addc_u32 s3, s13, s1
	s_load_dwordx2 s[0:1], s[2:3], 0x0
	v_readlane_b32 s14, v13, 4
	v_readlane_b32 s15, v13, 5
	s_waitcnt lgkmcnt(0)
	s_sub_i32 s6, s1, s0
	v_cmp_gt_i32_e32 vcc, s6, v0
	s_and_saveexec_b64 s[2:3], vcc
	s_cbranch_execz .LBB18_109
; %bb.100:
	s_sub_i32 s7, s0, s66
	s_and_b32 s8, s6, 7
	s_sub_i32 s0, s0, s1
	s_cmp_lt_u32 s0, -7
	s_cselect_b64 s[0:1], -1, 0
	s_and_b32 s9, s6, -8
	s_cmp_lg_u32 s8, 0
	v_cndmask_b32_e64 v1, 0, 1, s[0:1]
	s_cselect_b64 s[2:3], -1, 0
	v_cmp_ne_u32_e64 s[0:1], 1, v1
	v_cndmask_b32_e64 v1, 0, 1, s[2:3]
	s_mov_b64 s[4:5], 0
	v_cmp_ne_u32_e64 s[2:3], 1, v1
	v_mov_b32_e32 v3, s15
	s_branch .LBB18_102
.LBB18_101:                             ;   in Loop: Header=BB18_102 Depth=1
	s_waitcnt lgkmcnt(0)
	v_add_u32_e32 v4, s66, v2
	v_ashrrev_i32_e32 v2, 31, v1
	v_lshlrev_b64 v[1:2], 2, v[1:2]
	v_add_u32_e32 v0, 0x400, v0
	v_add_co_u32_e32 v1, vcc, s14, v1
	v_addc_co_u32_e32 v2, vcc, v3, v2, vcc
	v_cmp_le_i32_e32 vcc, s6, v0
	s_or_b64 s[4:5], vcc, s[4:5]
	global_store_dword v[1:2], v4, off
	s_andn2_b64 exec, exec, s[4:5]
	s_cbranch_execz .LBB18_109
.LBB18_102:                             ; =>This Loop Header: Depth=1
                                        ;     Child Loop BB18_104 Depth 2
                                        ;     Child Loop BB18_108 Depth 2
	v_lshl_add_u32 v1, v0, 2, 0
	ds_read_b32 v2, v1
	s_and_b64 vcc, exec, s[0:1]
	v_mov_b32_e32 v1, s7
	s_mov_b32 s10, 0
	s_cbranch_vccnz .LBB18_106
; %bb.103:                              ;   in Loop: Header=BB18_102 Depth=1
	s_mov_b32 s11, 0
	v_mov_b32_e32 v1, s7
.LBB18_104:                             ;   Parent Loop BB18_102 Depth=1
                                        ; =>  This Inner Loop Header: Depth=2
	v_mov_b32_e32 v10, s11
	ds_read2_b32 v[4:5], v10 offset1:1
	ds_read2_b32 v[6:7], v10 offset0:2 offset1:3
	ds_read2_b32 v[8:9], v10 offset0:4 offset1:5
	;; [unrolled: 1-line block ×3, first 2 shown]
	s_add_i32 s10, s10, 8
	s_waitcnt lgkmcnt(3)
	v_cmp_gt_i32_e32 vcc, v2, v4
	v_cndmask_b32_e64 v4, 0, 1, vcc
	s_waitcnt lgkmcnt(2)
	v_cmp_gt_i32_e32 vcc, v2, v6
	v_cndmask_b32_e64 v6, 0, 1, vcc
	;; [unrolled: 3-line block ×4, first 2 shown]
	v_cmp_gt_i32_e32 vcc, v2, v5
	v_addc_co_u32_e32 v1, vcc, v1, v4, vcc
	v_cmp_gt_i32_e32 vcc, v2, v7
	v_addc_co_u32_e32 v1, vcc, v1, v6, vcc
	;; [unrolled: 2-line block ×3, first 2 shown]
	s_add_i32 s11, s11, 32
	v_cmp_gt_i32_e32 vcc, v2, v11
	s_cmp_eq_u32 s9, s10
	v_addc_co_u32_e32 v1, vcc, v1, v10, vcc
	s_cbranch_scc0 .LBB18_104
; %bb.105:                              ;   in Loop: Header=BB18_102 Depth=1
	s_mov_b32 s10, s9
.LBB18_106:                             ;   in Loop: Header=BB18_102 Depth=1
	s_and_b64 vcc, exec, s[2:3]
	s_cbranch_vccnz .LBB18_101
; %bb.107:                              ;   in Loop: Header=BB18_102 Depth=1
	s_lshl_b32 s10, s10, 2
	s_add_i32 s10, s10, 0
	s_mov_b32 s11, s8
.LBB18_108:                             ;   Parent Loop BB18_102 Depth=1
                                        ; =>  This Inner Loop Header: Depth=2
	v_mov_b32_e32 v4, s10
	ds_read_b32 v4, v4
	s_add_i32 s10, s10, 4
	s_add_i32 s11, s11, -1
	s_cmp_lg_u32 s11, 0
	s_waitcnt lgkmcnt(0)
	v_cmp_gt_i32_e32 vcc, v2, v4
	v_addc_co_u32_e32 v1, vcc, 0, v1, vcc
	s_cbranch_scc1 .LBB18_108
	s_branch .LBB18_101
.LBB18_109:
	s_endpgm
	.section	.rodata,"a",@progbits
	.p2align	6, 0x0
	.amdhsa_kernel _ZN9rocsparseL35csrgemm_symbolic_fill_block_per_rowILj1024ELj64ELj16384ELj137ELj32EiiEEvT5_PKS1_S3_PKT4_S3_S6_S3_S6_S3_S6_PS1_21rocsparse_index_base_S8_S8_S8_bb
		.amdhsa_group_segment_fixed_size 0
		.amdhsa_private_segment_fixed_size 0
		.amdhsa_kernarg_size 108
		.amdhsa_user_sgpr_count 6
		.amdhsa_user_sgpr_private_segment_buffer 1
		.amdhsa_user_sgpr_dispatch_ptr 0
		.amdhsa_user_sgpr_queue_ptr 0
		.amdhsa_user_sgpr_kernarg_segment_ptr 1
		.amdhsa_user_sgpr_dispatch_id 0
		.amdhsa_user_sgpr_flat_scratch_init 0
		.amdhsa_user_sgpr_private_segment_size 0
		.amdhsa_uses_dynamic_stack 0
		.amdhsa_system_sgpr_private_segment_wavefront_offset 0
		.amdhsa_system_sgpr_workgroup_id_x 1
		.amdhsa_system_sgpr_workgroup_id_y 0
		.amdhsa_system_sgpr_workgroup_id_z 0
		.amdhsa_system_sgpr_workgroup_info 0
		.amdhsa_system_vgpr_workitem_id 0
		.amdhsa_next_free_vgpr 14
		.amdhsa_next_free_sgpr 96
		.amdhsa_reserve_vcc 1
		.amdhsa_reserve_flat_scratch 0
		.amdhsa_float_round_mode_32 0
		.amdhsa_float_round_mode_16_64 0
		.amdhsa_float_denorm_mode_32 3
		.amdhsa_float_denorm_mode_16_64 3
		.amdhsa_dx10_clamp 1
		.amdhsa_ieee_mode 1
		.amdhsa_fp16_overflow 0
		.amdhsa_exception_fp_ieee_invalid_op 0
		.amdhsa_exception_fp_denorm_src 0
		.amdhsa_exception_fp_ieee_div_zero 0
		.amdhsa_exception_fp_ieee_overflow 0
		.amdhsa_exception_fp_ieee_underflow 0
		.amdhsa_exception_fp_ieee_inexact 0
		.amdhsa_exception_int_div_zero 0
	.end_amdhsa_kernel
	.section	.text._ZN9rocsparseL35csrgemm_symbolic_fill_block_per_rowILj1024ELj64ELj16384ELj137ELj32EiiEEvT5_PKS1_S3_PKT4_S3_S6_S3_S6_S3_S6_PS1_21rocsparse_index_base_S8_S8_S8_bb,"axG",@progbits,_ZN9rocsparseL35csrgemm_symbolic_fill_block_per_rowILj1024ELj64ELj16384ELj137ELj32EiiEEvT5_PKS1_S3_PKT4_S3_S6_S3_S6_S3_S6_PS1_21rocsparse_index_base_S8_S8_S8_bb,comdat
.Lfunc_end18:
	.size	_ZN9rocsparseL35csrgemm_symbolic_fill_block_per_rowILj1024ELj64ELj16384ELj137ELj32EiiEEvT5_PKS1_S3_PKT4_S3_S6_S3_S6_S3_S6_PS1_21rocsparse_index_base_S8_S8_S8_bb, .Lfunc_end18-_ZN9rocsparseL35csrgemm_symbolic_fill_block_per_rowILj1024ELj64ELj16384ELj137ELj32EiiEEvT5_PKS1_S3_PKT4_S3_S6_S3_S6_S3_S6_PS1_21rocsparse_index_base_S8_S8_S8_bb
                                        ; -- End function
	.set _ZN9rocsparseL35csrgemm_symbolic_fill_block_per_rowILj1024ELj64ELj16384ELj137ELj32EiiEEvT5_PKS1_S3_PKT4_S3_S6_S3_S6_S3_S6_PS1_21rocsparse_index_base_S8_S8_S8_bb.num_vgpr, 14
	.set _ZN9rocsparseL35csrgemm_symbolic_fill_block_per_rowILj1024ELj64ELj16384ELj137ELj32EiiEEvT5_PKS1_S3_PKT4_S3_S6_S3_S6_S3_S6_PS1_21rocsparse_index_base_S8_S8_S8_bb.num_agpr, 0
	.set _ZN9rocsparseL35csrgemm_symbolic_fill_block_per_rowILj1024ELj64ELj16384ELj137ELj32EiiEEvT5_PKS1_S3_PKT4_S3_S6_S3_S6_S3_S6_PS1_21rocsparse_index_base_S8_S8_S8_bb.numbered_sgpr, 96
	.set _ZN9rocsparseL35csrgemm_symbolic_fill_block_per_rowILj1024ELj64ELj16384ELj137ELj32EiiEEvT5_PKS1_S3_PKT4_S3_S6_S3_S6_S3_S6_PS1_21rocsparse_index_base_S8_S8_S8_bb.num_named_barrier, 0
	.set _ZN9rocsparseL35csrgemm_symbolic_fill_block_per_rowILj1024ELj64ELj16384ELj137ELj32EiiEEvT5_PKS1_S3_PKT4_S3_S6_S3_S6_S3_S6_PS1_21rocsparse_index_base_S8_S8_S8_bb.private_seg_size, 0
	.set _ZN9rocsparseL35csrgemm_symbolic_fill_block_per_rowILj1024ELj64ELj16384ELj137ELj32EiiEEvT5_PKS1_S3_PKT4_S3_S6_S3_S6_S3_S6_PS1_21rocsparse_index_base_S8_S8_S8_bb.uses_vcc, 1
	.set _ZN9rocsparseL35csrgemm_symbolic_fill_block_per_rowILj1024ELj64ELj16384ELj137ELj32EiiEEvT5_PKS1_S3_PKT4_S3_S6_S3_S6_S3_S6_PS1_21rocsparse_index_base_S8_S8_S8_bb.uses_flat_scratch, 0
	.set _ZN9rocsparseL35csrgemm_symbolic_fill_block_per_rowILj1024ELj64ELj16384ELj137ELj32EiiEEvT5_PKS1_S3_PKT4_S3_S6_S3_S6_S3_S6_PS1_21rocsparse_index_base_S8_S8_S8_bb.has_dyn_sized_stack, 0
	.set _ZN9rocsparseL35csrgemm_symbolic_fill_block_per_rowILj1024ELj64ELj16384ELj137ELj32EiiEEvT5_PKS1_S3_PKT4_S3_S6_S3_S6_S3_S6_PS1_21rocsparse_index_base_S8_S8_S8_bb.has_recursion, 0
	.set _ZN9rocsparseL35csrgemm_symbolic_fill_block_per_rowILj1024ELj64ELj16384ELj137ELj32EiiEEvT5_PKS1_S3_PKT4_S3_S6_S3_S6_S3_S6_PS1_21rocsparse_index_base_S8_S8_S8_bb.has_indirect_call, 0
	.section	.AMDGPU.csdata,"",@progbits
; Kernel info:
; codeLenInByte = 3992
; TotalNumSgprs: 100
; NumVgprs: 14
; ScratchSize: 0
; MemoryBound: 0
; FloatMode: 240
; IeeeMode: 1
; LDSByteSize: 0 bytes/workgroup (compile time only)
; SGPRBlocks: 12
; VGPRBlocks: 3
; NumSGPRsForWavesPerEU: 100
; NumVGPRsForWavesPerEU: 14
; Occupancy: 8
; WaveLimiterHint : 1
; COMPUTE_PGM_RSRC2:SCRATCH_EN: 0
; COMPUTE_PGM_RSRC2:USER_SGPR: 6
; COMPUTE_PGM_RSRC2:TRAP_HANDLER: 0
; COMPUTE_PGM_RSRC2:TGID_X_EN: 1
; COMPUTE_PGM_RSRC2:TGID_Y_EN: 0
; COMPUTE_PGM_RSRC2:TGID_Z_EN: 0
; COMPUTE_PGM_RSRC2:TIDIG_COMP_CNT: 0
	.section	.text._ZN9rocsparseL35csrgemm_symbolic_fill_block_per_rowILj1024ELj64ELj16384ELj137ELj64EiiEEvT5_PKS1_S3_PKT4_S3_S6_S3_S6_S3_S6_PS1_21rocsparse_index_base_S8_S8_S8_bb,"axG",@progbits,_ZN9rocsparseL35csrgemm_symbolic_fill_block_per_rowILj1024ELj64ELj16384ELj137ELj64EiiEEvT5_PKS1_S3_PKT4_S3_S6_S3_S6_S3_S6_PS1_21rocsparse_index_base_S8_S8_S8_bb,comdat
	.globl	_ZN9rocsparseL35csrgemm_symbolic_fill_block_per_rowILj1024ELj64ELj16384ELj137ELj64EiiEEvT5_PKS1_S3_PKT4_S3_S6_S3_S6_S3_S6_PS1_21rocsparse_index_base_S8_S8_S8_bb ; -- Begin function _ZN9rocsparseL35csrgemm_symbolic_fill_block_per_rowILj1024ELj64ELj16384ELj137ELj64EiiEEvT5_PKS1_S3_PKT4_S3_S6_S3_S6_S3_S6_PS1_21rocsparse_index_base_S8_S8_S8_bb
	.p2align	8
	.type	_ZN9rocsparseL35csrgemm_symbolic_fill_block_per_rowILj1024ELj64ELj16384ELj137ELj64EiiEEvT5_PKS1_S3_PKT4_S3_S6_S3_S6_S3_S6_PS1_21rocsparse_index_base_S8_S8_S8_bb,@function
_ZN9rocsparseL35csrgemm_symbolic_fill_block_per_rowILj1024ELj64ELj16384ELj137ELj64EiiEEvT5_PKS1_S3_PKT4_S3_S6_S3_S6_S3_S6_PS1_21rocsparse_index_base_S8_S8_S8_bb: ; @_ZN9rocsparseL35csrgemm_symbolic_fill_block_per_rowILj1024ELj64ELj16384ELj137ELj64EiiEEvT5_PKS1_S3_PKT4_S3_S6_S3_S6_S3_S6_PS1_21rocsparse_index_base_S8_S8_S8_bb
; %bb.0:
	s_load_dwordx4 s[36:39], s[4:5], 0x48
	s_load_dwordx8 s[8:15], s[4:5], 0x28
	s_load_dword s33, s[4:5], 0x0
	s_load_dwordx8 s[16:23], s[4:5], 0x8
	v_or_b32_e32 v4, 0xfffffc00, v0
	v_lshl_add_u32 v5, v0, 2, 0
	s_mov_b64 s[0:1], 0
	s_waitcnt lgkmcnt(0)
	v_mov_b32_e32 v1, s33
	s_movk_i32 s2, 0x3bff
	v_mov_b32_e32 v2, v5
	v_mov_b32_e32 v3, v4
.LBB19_1:                               ; =>This Inner Loop Header: Depth=1
	v_add_u32_e32 v3, 0x400, v3
	v_cmp_lt_u32_e32 vcc, s2, v3
	ds_write_b32 v2, v1
	s_or_b64 s[0:1], vcc, s[0:1]
	v_add_u32_e32 v2, 0x1000, v2
	s_andn2_b64 exec, exec, s[0:1]
	s_cbranch_execnz .LBB19_1
; %bb.2:
	s_or_b64 exec, exec, s[0:1]
	s_load_dword s28, s[4:5], 0x68
	s_waitcnt lgkmcnt(0)
	s_barrier
	s_load_dword s2, s[16:17], 0x0
	s_load_dwordx4 s[40:43], s[4:5], 0x58
	s_bitcmp1_b32 s28, 0
	s_cselect_b64 s[0:1], -1, 0
	s_mov_b32 s3, 0
	s_waitcnt lgkmcnt(0)
	s_add_i32 s2, s2, s6
	s_lshl_b64 s[2:3], s[2:3], 2
	s_add_u32 s2, s18, s2
	s_addc_u32 s3, s19, s3
	s_load_dword s34, s[2:3], 0x0
	v_lshrrev_b32_e32 v6, 6, v0
	s_and_b64 vcc, exec, s[0:1]
	s_cbranch_vccz .LBB19_18
; %bb.3:
	s_waitcnt lgkmcnt(0)
	s_ashr_i32 s35, s34, 31
	s_lshl_b64 s[0:1], s[34:35], 2
	s_add_u32 s0, s20, s0
	s_addc_u32 s1, s21, s1
	s_load_dwordx2 s[2:3], s[0:1], 0x0
	v_subrev_u32_e32 v1, s40, v6
	s_waitcnt lgkmcnt(0)
	s_sub_i32 s29, s3, s40
	v_add_u32_e32 v1, s2, v1
	v_cmp_gt_i32_e32 vcc, s29, v1
	s_and_saveexec_b64 s[0:1], vcc
	s_cbranch_execz .LBB19_17
; %bb.4:
	v_and_b32_e32 v2, 63, v0
	v_subrev_u32_e32 v7, s41, v2
	s_mov_b64 s[2:3], 0
	v_mov_b32_e32 v8, s23
	v_mov_b32_e32 v9, s9
	s_movk_i32 s9, 0x89
	s_branch .LBB19_6
.LBB19_5:                               ;   in Loop: Header=BB19_6 Depth=1
	s_or_b64 exec, exec, s[4:5]
	v_add_u32_e32 v1, 16, v1
	v_cmp_le_i32_e32 vcc, s29, v1
	s_or_b64 s[2:3], vcc, s[2:3]
	s_andn2_b64 exec, exec, s[2:3]
	s_cbranch_execz .LBB19_17
.LBB19_6:                               ; =>This Loop Header: Depth=1
                                        ;     Child Loop BB19_9 Depth 2
                                        ;       Child Loop BB19_12 Depth 3
	v_ashrrev_i32_e32 v2, 31, v1
	v_lshlrev_b64 v[2:3], 2, v[1:2]
	v_add_co_u32_e32 v2, vcc, s22, v2
	v_addc_co_u32_e32 v3, vcc, v8, v3, vcc
	global_load_dword v2, v[2:3], off
	s_waitcnt vmcnt(0)
	v_subrev_u32_e32 v2, s40, v2
	v_ashrrev_i32_e32 v3, 31, v2
	v_lshlrev_b64 v[2:3], 2, v[2:3]
	v_add_co_u32_e32 v2, vcc, s8, v2
	v_addc_co_u32_e32 v3, vcc, v9, v3, vcc
	global_load_dwordx2 v[2:3], v[2:3], off
	s_waitcnt vmcnt(0)
	v_subrev_u32_e32 v10, s41, v3
	v_add_u32_e32 v2, v2, v7
	v_cmp_lt_i32_e32 vcc, v2, v10
	s_and_saveexec_b64 s[4:5], vcc
	s_cbranch_execz .LBB19_5
; %bb.7:                                ;   in Loop: Header=BB19_6 Depth=1
	s_mov_b64 s[6:7], 0
	s_branch .LBB19_9
.LBB19_8:                               ;   in Loop: Header=BB19_9 Depth=2
	s_or_b64 exec, exec, s[16:17]
	v_add_u32_e32 v2, 64, v2
	v_cmp_ge_i32_e32 vcc, v2, v10
	s_or_b64 s[6:7], vcc, s[6:7]
	s_andn2_b64 exec, exec, s[6:7]
	s_cbranch_execz .LBB19_5
.LBB19_9:                               ;   Parent Loop BB19_6 Depth=1
                                        ; =>  This Loop Header: Depth=2
                                        ;       Child Loop BB19_12 Depth 3
	v_ashrrev_i32_e32 v3, 31, v2
	v_lshlrev_b64 v[11:12], 2, v[2:3]
	v_mov_b32_e32 v3, s11
	v_add_co_u32_e32 v11, vcc, s10, v11
	v_addc_co_u32_e32 v12, vcc, v3, v12, vcc
	global_load_dword v3, v[11:12], off
	s_mov_b64 s[16:17], 0
                                        ; implicit-def: $sgpr18_sgpr19
	s_waitcnt vmcnt(0)
	v_subrev_u32_e32 v3, s41, v3
	v_mul_lo_u32 v11, v3, s9
	v_and_b32_e32 v11, 0x3fff, v11
	s_branch .LBB19_12
.LBB19_10:                              ;   in Loop: Header=BB19_12 Depth=3
	s_or_b64 exec, exec, s[24:25]
	s_andn2_b64 s[18:19], s[18:19], exec
	s_and_b64 s[24:25], s[26:27], exec
	s_or_b64 s[18:19], s[18:19], s[24:25]
.LBB19_11:                              ;   in Loop: Header=BB19_12 Depth=3
	s_or_b64 exec, exec, s[20:21]
	s_xor_b64 s[20:21], s[18:19], -1
	s_and_b64 s[20:21], exec, s[20:21]
	s_or_b64 s[16:17], s[20:21], s[16:17]
	s_andn2_b64 exec, exec, s[16:17]
	s_cbranch_execz .LBB19_8
.LBB19_12:                              ;   Parent Loop BB19_6 Depth=1
                                        ;     Parent Loop BB19_9 Depth=2
                                        ; =>    This Inner Loop Header: Depth=3
	v_lshl_add_u32 v12, v11, 2, 0
	ds_read_b32 v13, v12
	s_andn2_b64 s[18:19], s[18:19], exec
	s_waitcnt lgkmcnt(0)
	v_cmp_ne_u32_e32 vcc, v13, v3
	s_and_saveexec_b64 s[20:21], vcc
	s_cbranch_execz .LBB19_11
; %bb.13:                               ;   in Loop: Header=BB19_12 Depth=3
	v_cmp_ne_u32_e32 vcc, s33, v13
	s_and_saveexec_b64 s[24:25], vcc
	s_xor_b64 s[24:25], exec, s[24:25]
; %bb.14:                               ;   in Loop: Header=BB19_12 Depth=3
	v_add_u32_e32 v11, 1, v11
	v_and_b32_e32 v11, 0x3fff, v11
                                        ; implicit-def: $vgpr12
; %bb.15:                               ;   in Loop: Header=BB19_12 Depth=3
	s_or_saveexec_b64 s[24:25], s[24:25]
	s_mov_b64 s[26:27], -1
	s_xor_b64 exec, exec, s[24:25]
	s_cbranch_execz .LBB19_10
; %bb.16:                               ;   in Loop: Header=BB19_12 Depth=3
	v_mov_b32_e32 v13, s33
	ds_cmpst_rtn_b32 v12, v12, v13, v3
	s_waitcnt lgkmcnt(0)
	v_cmp_ne_u32_e32 vcc, s33, v12
	s_orn2_b64 s[26:27], vcc, exec
	s_branch .LBB19_10
.LBB19_17:
	s_or_b64 exec, exec, s[0:1]
.LBB19_18:
	s_bfe_u32 s0, s28, 0x10008
	s_cmp_eq_u32 s0, 0
	s_cbranch_scc1 .LBB19_31
; %bb.19:
	s_waitcnt lgkmcnt(0)
	s_ashr_i32 s35, s34, 31
	s_lshl_b64 s[0:1], s[34:35], 2
	s_add_u32 s0, s12, s0
	s_addc_u32 s1, s13, s1
	s_load_dwordx2 s[2:3], s[0:1], 0x0
	v_subrev_u32_e32 v1, s43, v0
	s_waitcnt lgkmcnt(0)
	s_sub_i32 s16, s3, s43
	v_add_u32_e32 v1, s2, v1
	v_cmp_gt_i32_e32 vcc, s16, v1
	s_and_saveexec_b64 s[0:1], vcc
	s_cbranch_execz .LBB19_30
; %bb.20:
	s_mov_b64 s[2:3], 0
	v_mov_b32_e32 v3, s15
	s_movk_i32 s15, 0x89
	s_branch .LBB19_22
.LBB19_21:                              ;   in Loop: Header=BB19_22 Depth=1
	s_or_b64 exec, exec, s[4:5]
	v_add_u32_e32 v1, 0x400, v1
	v_cmp_le_i32_e32 vcc, s16, v1
	s_or_b64 s[2:3], vcc, s[2:3]
	s_andn2_b64 exec, exec, s[2:3]
	s_cbranch_execz .LBB19_30
.LBB19_22:                              ; =>This Loop Header: Depth=1
                                        ;     Child Loop BB19_25 Depth 2
	v_ashrrev_i32_e32 v2, 31, v1
	v_lshlrev_b64 v[7:8], 2, v[1:2]
	s_mov_b64 s[4:5], 0
	v_add_co_u32_e32 v7, vcc, s14, v7
	v_addc_co_u32_e32 v8, vcc, v3, v8, vcc
	global_load_dword v2, v[7:8], off
                                        ; implicit-def: $sgpr6_sgpr7
	s_waitcnt vmcnt(0)
	v_subrev_u32_e32 v2, s43, v2
	v_mul_lo_u32 v7, v2, s15
	v_and_b32_e32 v7, 0x3fff, v7
	s_branch .LBB19_25
.LBB19_23:                              ;   in Loop: Header=BB19_25 Depth=2
	s_or_b64 exec, exec, s[10:11]
	s_andn2_b64 s[6:7], s[6:7], exec
	s_and_b64 s[10:11], s[12:13], exec
	s_or_b64 s[6:7], s[6:7], s[10:11]
.LBB19_24:                              ;   in Loop: Header=BB19_25 Depth=2
	s_or_b64 exec, exec, s[8:9]
	s_xor_b64 s[8:9], s[6:7], -1
	s_and_b64 s[8:9], exec, s[8:9]
	s_or_b64 s[4:5], s[8:9], s[4:5]
	s_andn2_b64 exec, exec, s[4:5]
	s_cbranch_execz .LBB19_21
.LBB19_25:                              ;   Parent Loop BB19_22 Depth=1
                                        ; =>  This Inner Loop Header: Depth=2
	v_lshl_add_u32 v8, v7, 2, 0
	ds_read_b32 v9, v8
	s_andn2_b64 s[6:7], s[6:7], exec
	s_waitcnt lgkmcnt(0)
	v_cmp_ne_u32_e32 vcc, v9, v2
	s_and_saveexec_b64 s[8:9], vcc
	s_cbranch_execz .LBB19_24
; %bb.26:                               ;   in Loop: Header=BB19_25 Depth=2
	v_cmp_ne_u32_e32 vcc, s33, v9
	s_and_saveexec_b64 s[10:11], vcc
	s_xor_b64 s[10:11], exec, s[10:11]
; %bb.27:                               ;   in Loop: Header=BB19_25 Depth=2
	v_add_u32_e32 v7, 1, v7
	v_and_b32_e32 v7, 0x3fff, v7
                                        ; implicit-def: $vgpr8
; %bb.28:                               ;   in Loop: Header=BB19_25 Depth=2
	s_or_saveexec_b64 s[10:11], s[10:11]
	s_mov_b64 s[12:13], -1
	s_xor_b64 exec, exec, s[10:11]
	s_cbranch_execz .LBB19_23
; %bb.29:                               ;   in Loop: Header=BB19_25 Depth=2
	v_mov_b32_e32 v9, s33
	ds_cmpst_rtn_b32 v8, v8, v9, v2
	s_waitcnt lgkmcnt(0)
	v_cmp_ne_u32_e32 vcc, s33, v8
	s_orn2_b64 s[12:13], vcc, exec
	s_branch .LBB19_23
.LBB19_30:
	s_or_b64 exec, exec, s[0:1]
.LBB19_31:
	v_mbcnt_lo_u32_b32 v1, -1, 0
	v_mbcnt_hi_u32_b32 v1, -1, v1
	v_sub_u32_e32 v1, 63, v1
	v_lshrrev_b64 v[1:2], v1, -1
	s_add_i32 s35, 0, 0x10000
	s_movk_i32 s0, 0x3ff
	s_movk_i32 s2, 0x7f
	;; [unrolled: 1-line block ×15, first 2 shown]
	v_lshl_add_u32 v3, v6, 2, s35
	v_cmp_eq_u32_e32 vcc, s0, v0
	v_cmp_lt_u32_e64 s[0:1], 63, v0
	v_cmp_lt_u32_e64 s[2:3], s2, v0
	;; [unrolled: 1-line block ×15, first 2 shown]
	s_mov_b64 s[40:41], 0
	v_mov_b32_e32 v6, 0
	s_add_i32 s43, 0, 0x10004
	s_add_i32 s46, 0, 0x10008
	;; [unrolled: 1-line block ×15, first 2 shown]
	s_movk_i32 s60, 0x3bff
	s_waitcnt lgkmcnt(0)
	s_barrier
	s_branch .LBB19_33
.LBB19_32:                              ;   in Loop: Header=BB19_33 Depth=1
	s_or_b64 exec, exec, s[30:31]
	v_mov_b32_e32 v7, s59
	s_waitcnt lgkmcnt(0)
	s_barrier
	ds_read_b32 v7, v7
	v_add_u32_e32 v4, 0x400, v4
	v_cmp_lt_u32_e64 s[30:31], s60, v4
	s_or_b64 s[40:41], s[30:31], s[40:41]
	v_add_u32_e32 v5, 0x1000, v5
	s_waitcnt lgkmcnt(0)
	v_add_u32_e32 v6, v7, v6
	s_andn2_b64 exec, exec, s[40:41]
	s_cbranch_execz .LBB19_67
.LBB19_33:                              ; =>This Inner Loop Header: Depth=1
	ds_read_b32 v7, v5
	s_waitcnt lgkmcnt(0)
	s_barrier
	v_cmp_gt_i32_e64 s[30:31], s33, v7
	v_and_b32_e32 v9, s30, v1
	s_bcnt1_i32_b64 s44, s[30:31]
	v_and_b32_e32 v8, s31, v2
	v_bcnt_u32_b32 v9, v9, 0
	v_bcnt_u32_b32 v8, v8, v9
	v_mov_b32_e32 v9, s44
	ds_write_b32 v3, v9
	s_waitcnt lgkmcnt(0)
	s_barrier
	s_and_saveexec_b64 s[44:45], s[0:1]
	s_cbranch_execnz .LBB19_50
; %bb.34:                               ;   in Loop: Header=BB19_33 Depth=1
	s_or_b64 exec, exec, s[44:45]
	s_and_saveexec_b64 s[44:45], s[2:3]
	s_cbranch_execnz .LBB19_51
.LBB19_35:                              ;   in Loop: Header=BB19_33 Depth=1
	s_or_b64 exec, exec, s[44:45]
	s_and_saveexec_b64 s[44:45], s[4:5]
	s_cbranch_execnz .LBB19_52
.LBB19_36:                              ;   in Loop: Header=BB19_33 Depth=1
	s_or_b64 exec, exec, s[44:45]
	s_and_saveexec_b64 s[44:45], s[6:7]
	s_cbranch_execnz .LBB19_53
.LBB19_37:                              ;   in Loop: Header=BB19_33 Depth=1
	s_or_b64 exec, exec, s[44:45]
	s_and_saveexec_b64 s[44:45], s[8:9]
	s_cbranch_execnz .LBB19_54
.LBB19_38:                              ;   in Loop: Header=BB19_33 Depth=1
	s_or_b64 exec, exec, s[44:45]
	s_and_saveexec_b64 s[44:45], s[10:11]
	s_cbranch_execnz .LBB19_55
.LBB19_39:                              ;   in Loop: Header=BB19_33 Depth=1
	s_or_b64 exec, exec, s[44:45]
	s_and_saveexec_b64 s[44:45], s[12:13]
	s_cbranch_execnz .LBB19_56
.LBB19_40:                              ;   in Loop: Header=BB19_33 Depth=1
	s_or_b64 exec, exec, s[44:45]
	s_and_saveexec_b64 s[44:45], s[14:15]
	s_cbranch_execnz .LBB19_57
.LBB19_41:                              ;   in Loop: Header=BB19_33 Depth=1
	s_or_b64 exec, exec, s[44:45]
	s_and_saveexec_b64 s[44:45], s[16:17]
	s_cbranch_execnz .LBB19_58
.LBB19_42:                              ;   in Loop: Header=BB19_33 Depth=1
	s_or_b64 exec, exec, s[44:45]
	s_and_saveexec_b64 s[44:45], s[18:19]
	s_cbranch_execnz .LBB19_59
.LBB19_43:                              ;   in Loop: Header=BB19_33 Depth=1
	s_or_b64 exec, exec, s[44:45]
	s_and_saveexec_b64 s[44:45], s[20:21]
	s_cbranch_execnz .LBB19_60
.LBB19_44:                              ;   in Loop: Header=BB19_33 Depth=1
	s_or_b64 exec, exec, s[44:45]
	s_and_saveexec_b64 s[44:45], s[22:23]
	s_cbranch_execnz .LBB19_61
.LBB19_45:                              ;   in Loop: Header=BB19_33 Depth=1
	s_or_b64 exec, exec, s[44:45]
	s_and_saveexec_b64 s[44:45], s[24:25]
	s_cbranch_execnz .LBB19_62
.LBB19_46:                              ;   in Loop: Header=BB19_33 Depth=1
	s_or_b64 exec, exec, s[44:45]
	s_and_saveexec_b64 s[44:45], s[26:27]
	s_cbranch_execnz .LBB19_63
.LBB19_47:                              ;   in Loop: Header=BB19_33 Depth=1
	s_or_b64 exec, exec, s[44:45]
	s_and_saveexec_b64 s[44:45], s[28:29]
	s_cbranch_execnz .LBB19_64
.LBB19_48:                              ;   in Loop: Header=BB19_33 Depth=1
	s_or_b64 exec, exec, s[44:45]
	s_and_saveexec_b64 s[44:45], s[30:31]
	s_cbranch_execnz .LBB19_65
.LBB19_49:                              ;   in Loop: Header=BB19_33 Depth=1
	s_or_b64 exec, exec, s[44:45]
	s_and_saveexec_b64 s[30:31], vcc
	s_cbranch_execz .LBB19_32
	s_branch .LBB19_66
.LBB19_50:                              ;   in Loop: Header=BB19_33 Depth=1
	v_mov_b32_e32 v9, s35
	ds_read_b32 v9, v9
	s_waitcnt lgkmcnt(0)
	v_add_u32_e32 v8, v9, v8
	s_or_b64 exec, exec, s[44:45]
	s_and_saveexec_b64 s[44:45], s[2:3]
	s_cbranch_execz .LBB19_35
.LBB19_51:                              ;   in Loop: Header=BB19_33 Depth=1
	v_mov_b32_e32 v9, s43
	ds_read_b32 v9, v9
	s_waitcnt lgkmcnt(0)
	v_add_u32_e32 v8, v9, v8
	s_or_b64 exec, exec, s[44:45]
	s_and_saveexec_b64 s[44:45], s[4:5]
	s_cbranch_execz .LBB19_36
.LBB19_52:                              ;   in Loop: Header=BB19_33 Depth=1
	v_mov_b32_e32 v9, s46
	ds_read_b32 v9, v9
	s_waitcnt lgkmcnt(0)
	v_add_u32_e32 v8, v9, v8
	s_or_b64 exec, exec, s[44:45]
	s_and_saveexec_b64 s[44:45], s[6:7]
	s_cbranch_execz .LBB19_37
.LBB19_53:                              ;   in Loop: Header=BB19_33 Depth=1
	v_mov_b32_e32 v9, s47
	ds_read_b32 v9, v9
	s_waitcnt lgkmcnt(0)
	v_add_u32_e32 v8, v9, v8
	s_or_b64 exec, exec, s[44:45]
	s_and_saveexec_b64 s[44:45], s[8:9]
	s_cbranch_execz .LBB19_38
.LBB19_54:                              ;   in Loop: Header=BB19_33 Depth=1
	v_mov_b32_e32 v9, s48
	ds_read_b32 v9, v9
	s_waitcnt lgkmcnt(0)
	v_add_u32_e32 v8, v9, v8
	s_or_b64 exec, exec, s[44:45]
	s_and_saveexec_b64 s[44:45], s[10:11]
	s_cbranch_execz .LBB19_39
.LBB19_55:                              ;   in Loop: Header=BB19_33 Depth=1
	v_mov_b32_e32 v9, s49
	ds_read_b32 v9, v9
	s_waitcnt lgkmcnt(0)
	v_add_u32_e32 v8, v9, v8
	s_or_b64 exec, exec, s[44:45]
	s_and_saveexec_b64 s[44:45], s[12:13]
	s_cbranch_execz .LBB19_40
.LBB19_56:                              ;   in Loop: Header=BB19_33 Depth=1
	v_mov_b32_e32 v9, s50
	ds_read_b32 v9, v9
	s_waitcnt lgkmcnt(0)
	v_add_u32_e32 v8, v9, v8
	s_or_b64 exec, exec, s[44:45]
	s_and_saveexec_b64 s[44:45], s[14:15]
	s_cbranch_execz .LBB19_41
.LBB19_57:                              ;   in Loop: Header=BB19_33 Depth=1
	v_mov_b32_e32 v9, s51
	ds_read_b32 v9, v9
	s_waitcnt lgkmcnt(0)
	v_add_u32_e32 v8, v9, v8
	s_or_b64 exec, exec, s[44:45]
	s_and_saveexec_b64 s[44:45], s[16:17]
	s_cbranch_execz .LBB19_42
.LBB19_58:                              ;   in Loop: Header=BB19_33 Depth=1
	v_mov_b32_e32 v9, s52
	ds_read_b32 v9, v9
	s_waitcnt lgkmcnt(0)
	v_add_u32_e32 v8, v9, v8
	s_or_b64 exec, exec, s[44:45]
	s_and_saveexec_b64 s[44:45], s[18:19]
	s_cbranch_execz .LBB19_43
.LBB19_59:                              ;   in Loop: Header=BB19_33 Depth=1
	v_mov_b32_e32 v9, s53
	ds_read_b32 v9, v9
	s_waitcnt lgkmcnt(0)
	v_add_u32_e32 v8, v9, v8
	s_or_b64 exec, exec, s[44:45]
	s_and_saveexec_b64 s[44:45], s[20:21]
	s_cbranch_execz .LBB19_44
.LBB19_60:                              ;   in Loop: Header=BB19_33 Depth=1
	v_mov_b32_e32 v9, s54
	ds_read_b32 v9, v9
	s_waitcnt lgkmcnt(0)
	v_add_u32_e32 v8, v9, v8
	s_or_b64 exec, exec, s[44:45]
	s_and_saveexec_b64 s[44:45], s[22:23]
	s_cbranch_execz .LBB19_45
.LBB19_61:                              ;   in Loop: Header=BB19_33 Depth=1
	v_mov_b32_e32 v9, s55
	ds_read_b32 v9, v9
	s_waitcnt lgkmcnt(0)
	v_add_u32_e32 v8, v9, v8
	s_or_b64 exec, exec, s[44:45]
	s_and_saveexec_b64 s[44:45], s[24:25]
	s_cbranch_execz .LBB19_46
.LBB19_62:                              ;   in Loop: Header=BB19_33 Depth=1
	v_mov_b32_e32 v9, s56
	ds_read_b32 v9, v9
	s_waitcnt lgkmcnt(0)
	v_add_u32_e32 v8, v9, v8
	s_or_b64 exec, exec, s[44:45]
	s_and_saveexec_b64 s[44:45], s[26:27]
	s_cbranch_execz .LBB19_47
.LBB19_63:                              ;   in Loop: Header=BB19_33 Depth=1
	v_mov_b32_e32 v9, s57
	ds_read_b32 v9, v9
	s_waitcnt lgkmcnt(0)
	v_add_u32_e32 v8, v9, v8
	s_or_b64 exec, exec, s[44:45]
	s_and_saveexec_b64 s[44:45], s[28:29]
	s_cbranch_execz .LBB19_48
.LBB19_64:                              ;   in Loop: Header=BB19_33 Depth=1
	v_mov_b32_e32 v9, s58
	ds_read_b32 v9, v9
	s_waitcnt lgkmcnt(0)
	v_add_u32_e32 v8, v9, v8
	s_or_b64 exec, exec, s[44:45]
	s_and_saveexec_b64 s[44:45], s[30:31]
	s_cbranch_execz .LBB19_49
.LBB19_65:                              ;   in Loop: Header=BB19_33 Depth=1
	v_lshlrev_b32_e32 v9, 2, v6
	v_add_u32_e32 v9, 0, v9
	v_lshlrev_b32_e32 v10, 2, v8
	v_add3_u32 v9, v9, v10, -4
	ds_write_b32 v9, v7
	s_or_b64 exec, exec, s[44:45]
	s_and_saveexec_b64 s[30:31], vcc
	s_cbranch_execz .LBB19_32
.LBB19_66:                              ;   in Loop: Header=BB19_33 Depth=1
	v_mov_b32_e32 v7, s59
	ds_write_b32 v7, v8
	s_branch .LBB19_32
.LBB19_67:
	s_or_b64 exec, exec, s[40:41]
	s_ashr_i32 s35, s34, 31
	s_lshl_b64 s[0:1], s[34:35], 2
	s_add_u32 s2, s36, s0
	s_addc_u32 s3, s37, s1
	s_load_dwordx2 s[0:1], s[2:3], 0x0
	s_waitcnt lgkmcnt(0)
	s_sub_i32 s6, s1, s0
	v_cmp_gt_i32_e32 vcc, s6, v0
	s_and_saveexec_b64 s[2:3], vcc
	s_cbranch_execz .LBB19_77
; %bb.68:
	s_sub_i32 s7, s0, s42
	s_and_b32 s8, s6, 7
	s_sub_i32 s0, s0, s1
	s_cmp_lt_u32 s0, -7
	s_cselect_b64 s[0:1], -1, 0
	s_and_b32 s9, s6, -8
	s_cmp_lg_u32 s8, 0
	v_cndmask_b32_e64 v1, 0, 1, s[0:1]
	s_cselect_b64 s[2:3], -1, 0
	v_cmp_ne_u32_e64 s[0:1], 1, v1
	v_cndmask_b32_e64 v1, 0, 1, s[2:3]
	s_mov_b64 s[4:5], 0
	v_cmp_ne_u32_e64 s[2:3], 1, v1
	v_mov_b32_e32 v3, s39
	s_branch .LBB19_70
.LBB19_69:                              ;   in Loop: Header=BB19_70 Depth=1
	s_waitcnt lgkmcnt(0)
	v_add_u32_e32 v4, s42, v2
	v_ashrrev_i32_e32 v2, 31, v1
	v_lshlrev_b64 v[1:2], 2, v[1:2]
	v_add_u32_e32 v0, 0x400, v0
	v_add_co_u32_e32 v1, vcc, s38, v1
	v_addc_co_u32_e32 v2, vcc, v3, v2, vcc
	v_cmp_le_i32_e32 vcc, s6, v0
	s_or_b64 s[4:5], vcc, s[4:5]
	global_store_dword v[1:2], v4, off
	s_andn2_b64 exec, exec, s[4:5]
	s_cbranch_execz .LBB19_77
.LBB19_70:                              ; =>This Loop Header: Depth=1
                                        ;     Child Loop BB19_72 Depth 2
                                        ;     Child Loop BB19_76 Depth 2
	v_lshl_add_u32 v1, v0, 2, 0
	ds_read_b32 v2, v1
	s_and_b64 vcc, exec, s[0:1]
	v_mov_b32_e32 v1, s7
	s_mov_b32 s10, 0
	s_cbranch_vccnz .LBB19_74
; %bb.71:                               ;   in Loop: Header=BB19_70 Depth=1
	s_mov_b32 s11, 0
	v_mov_b32_e32 v1, s7
.LBB19_72:                              ;   Parent Loop BB19_70 Depth=1
                                        ; =>  This Inner Loop Header: Depth=2
	v_mov_b32_e32 v10, s11
	ds_read2_b32 v[4:5], v10 offset1:1
	ds_read2_b32 v[6:7], v10 offset0:2 offset1:3
	ds_read2_b32 v[8:9], v10 offset0:4 offset1:5
	;; [unrolled: 1-line block ×3, first 2 shown]
	s_add_i32 s10, s10, 8
	s_waitcnt lgkmcnt(3)
	v_cmp_gt_i32_e32 vcc, v2, v4
	v_cndmask_b32_e64 v4, 0, 1, vcc
	s_waitcnt lgkmcnt(2)
	v_cmp_gt_i32_e32 vcc, v2, v6
	v_cndmask_b32_e64 v6, 0, 1, vcc
	;; [unrolled: 3-line block ×4, first 2 shown]
	v_cmp_gt_i32_e32 vcc, v2, v5
	v_addc_co_u32_e32 v1, vcc, v1, v4, vcc
	v_cmp_gt_i32_e32 vcc, v2, v7
	v_addc_co_u32_e32 v1, vcc, v1, v6, vcc
	;; [unrolled: 2-line block ×3, first 2 shown]
	s_add_i32 s11, s11, 32
	v_cmp_gt_i32_e32 vcc, v2, v11
	s_cmp_eq_u32 s9, s10
	v_addc_co_u32_e32 v1, vcc, v1, v10, vcc
	s_cbranch_scc0 .LBB19_72
; %bb.73:                               ;   in Loop: Header=BB19_70 Depth=1
	s_mov_b32 s10, s9
.LBB19_74:                              ;   in Loop: Header=BB19_70 Depth=1
	s_and_b64 vcc, exec, s[2:3]
	s_cbranch_vccnz .LBB19_69
; %bb.75:                               ;   in Loop: Header=BB19_70 Depth=1
	s_lshl_b32 s10, s10, 2
	s_add_i32 s10, s10, 0
	s_mov_b32 s11, s8
.LBB19_76:                              ;   Parent Loop BB19_70 Depth=1
                                        ; =>  This Inner Loop Header: Depth=2
	v_mov_b32_e32 v4, s10
	ds_read_b32 v4, v4
	s_add_i32 s10, s10, 4
	s_add_i32 s11, s11, -1
	s_cmp_lg_u32 s11, 0
	s_waitcnt lgkmcnt(0)
	v_cmp_gt_i32_e32 vcc, v2, v4
	v_addc_co_u32_e32 v1, vcc, 0, v1, vcc
	s_cbranch_scc1 .LBB19_76
	s_branch .LBB19_69
.LBB19_77:
	s_endpgm
	.section	.rodata,"a",@progbits
	.p2align	6, 0x0
	.amdhsa_kernel _ZN9rocsparseL35csrgemm_symbolic_fill_block_per_rowILj1024ELj64ELj16384ELj137ELj64EiiEEvT5_PKS1_S3_PKT4_S3_S6_S3_S6_S3_S6_PS1_21rocsparse_index_base_S8_S8_S8_bb
		.amdhsa_group_segment_fixed_size 0
		.amdhsa_private_segment_fixed_size 0
		.amdhsa_kernarg_size 108
		.amdhsa_user_sgpr_count 6
		.amdhsa_user_sgpr_private_segment_buffer 1
		.amdhsa_user_sgpr_dispatch_ptr 0
		.amdhsa_user_sgpr_queue_ptr 0
		.amdhsa_user_sgpr_kernarg_segment_ptr 1
		.amdhsa_user_sgpr_dispatch_id 0
		.amdhsa_user_sgpr_flat_scratch_init 0
		.amdhsa_user_sgpr_private_segment_size 0
		.amdhsa_uses_dynamic_stack 0
		.amdhsa_system_sgpr_private_segment_wavefront_offset 0
		.amdhsa_system_sgpr_workgroup_id_x 1
		.amdhsa_system_sgpr_workgroup_id_y 0
		.amdhsa_system_sgpr_workgroup_id_z 0
		.amdhsa_system_sgpr_workgroup_info 0
		.amdhsa_system_vgpr_workitem_id 0
		.amdhsa_next_free_vgpr 14
		.amdhsa_next_free_sgpr 61
		.amdhsa_reserve_vcc 1
		.amdhsa_reserve_flat_scratch 0
		.amdhsa_float_round_mode_32 0
		.amdhsa_float_round_mode_16_64 0
		.amdhsa_float_denorm_mode_32 3
		.amdhsa_float_denorm_mode_16_64 3
		.amdhsa_dx10_clamp 1
		.amdhsa_ieee_mode 1
		.amdhsa_fp16_overflow 0
		.amdhsa_exception_fp_ieee_invalid_op 0
		.amdhsa_exception_fp_denorm_src 0
		.amdhsa_exception_fp_ieee_div_zero 0
		.amdhsa_exception_fp_ieee_overflow 0
		.amdhsa_exception_fp_ieee_underflow 0
		.amdhsa_exception_fp_ieee_inexact 0
		.amdhsa_exception_int_div_zero 0
	.end_amdhsa_kernel
	.section	.text._ZN9rocsparseL35csrgemm_symbolic_fill_block_per_rowILj1024ELj64ELj16384ELj137ELj64EiiEEvT5_PKS1_S3_PKT4_S3_S6_S3_S6_S3_S6_PS1_21rocsparse_index_base_S8_S8_S8_bb,"axG",@progbits,_ZN9rocsparseL35csrgemm_symbolic_fill_block_per_rowILj1024ELj64ELj16384ELj137ELj64EiiEEvT5_PKS1_S3_PKT4_S3_S6_S3_S6_S3_S6_PS1_21rocsparse_index_base_S8_S8_S8_bb,comdat
.Lfunc_end19:
	.size	_ZN9rocsparseL35csrgemm_symbolic_fill_block_per_rowILj1024ELj64ELj16384ELj137ELj64EiiEEvT5_PKS1_S3_PKT4_S3_S6_S3_S6_S3_S6_PS1_21rocsparse_index_base_S8_S8_S8_bb, .Lfunc_end19-_ZN9rocsparseL35csrgemm_symbolic_fill_block_per_rowILj1024ELj64ELj16384ELj137ELj64EiiEEvT5_PKS1_S3_PKT4_S3_S6_S3_S6_S3_S6_PS1_21rocsparse_index_base_S8_S8_S8_bb
                                        ; -- End function
	.set _ZN9rocsparseL35csrgemm_symbolic_fill_block_per_rowILj1024ELj64ELj16384ELj137ELj64EiiEEvT5_PKS1_S3_PKT4_S3_S6_S3_S6_S3_S6_PS1_21rocsparse_index_base_S8_S8_S8_bb.num_vgpr, 14
	.set _ZN9rocsparseL35csrgemm_symbolic_fill_block_per_rowILj1024ELj64ELj16384ELj137ELj64EiiEEvT5_PKS1_S3_PKT4_S3_S6_S3_S6_S3_S6_PS1_21rocsparse_index_base_S8_S8_S8_bb.num_agpr, 0
	.set _ZN9rocsparseL35csrgemm_symbolic_fill_block_per_rowILj1024ELj64ELj16384ELj137ELj64EiiEEvT5_PKS1_S3_PKT4_S3_S6_S3_S6_S3_S6_PS1_21rocsparse_index_base_S8_S8_S8_bb.numbered_sgpr, 61
	.set _ZN9rocsparseL35csrgemm_symbolic_fill_block_per_rowILj1024ELj64ELj16384ELj137ELj64EiiEEvT5_PKS1_S3_PKT4_S3_S6_S3_S6_S3_S6_PS1_21rocsparse_index_base_S8_S8_S8_bb.num_named_barrier, 0
	.set _ZN9rocsparseL35csrgemm_symbolic_fill_block_per_rowILj1024ELj64ELj16384ELj137ELj64EiiEEvT5_PKS1_S3_PKT4_S3_S6_S3_S6_S3_S6_PS1_21rocsparse_index_base_S8_S8_S8_bb.private_seg_size, 0
	.set _ZN9rocsparseL35csrgemm_symbolic_fill_block_per_rowILj1024ELj64ELj16384ELj137ELj64EiiEEvT5_PKS1_S3_PKT4_S3_S6_S3_S6_S3_S6_PS1_21rocsparse_index_base_S8_S8_S8_bb.uses_vcc, 1
	.set _ZN9rocsparseL35csrgemm_symbolic_fill_block_per_rowILj1024ELj64ELj16384ELj137ELj64EiiEEvT5_PKS1_S3_PKT4_S3_S6_S3_S6_S3_S6_PS1_21rocsparse_index_base_S8_S8_S8_bb.uses_flat_scratch, 0
	.set _ZN9rocsparseL35csrgemm_symbolic_fill_block_per_rowILj1024ELj64ELj16384ELj137ELj64EiiEEvT5_PKS1_S3_PKT4_S3_S6_S3_S6_S3_S6_PS1_21rocsparse_index_base_S8_S8_S8_bb.has_dyn_sized_stack, 0
	.set _ZN9rocsparseL35csrgemm_symbolic_fill_block_per_rowILj1024ELj64ELj16384ELj137ELj64EiiEEvT5_PKS1_S3_PKT4_S3_S6_S3_S6_S3_S6_PS1_21rocsparse_index_base_S8_S8_S8_bb.has_recursion, 0
	.set _ZN9rocsparseL35csrgemm_symbolic_fill_block_per_rowILj1024ELj64ELj16384ELj137ELj64EiiEEvT5_PKS1_S3_PKT4_S3_S6_S3_S6_S3_S6_PS1_21rocsparse_index_base_S8_S8_S8_bb.has_indirect_call, 0
	.section	.AMDGPU.csdata,"",@progbits
; Kernel info:
; codeLenInByte = 2660
; TotalNumSgprs: 65
; NumVgprs: 14
; ScratchSize: 0
; MemoryBound: 0
; FloatMode: 240
; IeeeMode: 1
; LDSByteSize: 0 bytes/workgroup (compile time only)
; SGPRBlocks: 8
; VGPRBlocks: 3
; NumSGPRsForWavesPerEU: 65
; NumVGPRsForWavesPerEU: 14
; Occupancy: 10
; WaveLimiterHint : 1
; COMPUTE_PGM_RSRC2:SCRATCH_EN: 0
; COMPUTE_PGM_RSRC2:USER_SGPR: 6
; COMPUTE_PGM_RSRC2:TRAP_HANDLER: 0
; COMPUTE_PGM_RSRC2:TGID_X_EN: 1
; COMPUTE_PGM_RSRC2:TGID_Y_EN: 0
; COMPUTE_PGM_RSRC2:TGID_Z_EN: 0
; COMPUTE_PGM_RSRC2:TIDIG_COMP_CNT: 0
	.section	.text._ZN9rocsparseL35csrgemm_symbolic_fill_block_per_rowILj1024ELj64ELj32768ELj137ELj32EiiEEvT5_PKS1_S3_PKT4_S3_S6_S3_S6_S3_S6_PS1_21rocsparse_index_base_S8_S8_S8_bb,"axG",@progbits,_ZN9rocsparseL35csrgemm_symbolic_fill_block_per_rowILj1024ELj64ELj32768ELj137ELj32EiiEEvT5_PKS1_S3_PKT4_S3_S6_S3_S6_S3_S6_PS1_21rocsparse_index_base_S8_S8_S8_bb,comdat
	.globl	_ZN9rocsparseL35csrgemm_symbolic_fill_block_per_rowILj1024ELj64ELj32768ELj137ELj32EiiEEvT5_PKS1_S3_PKT4_S3_S6_S3_S6_S3_S6_PS1_21rocsparse_index_base_S8_S8_S8_bb ; -- Begin function _ZN9rocsparseL35csrgemm_symbolic_fill_block_per_rowILj1024ELj64ELj32768ELj137ELj32EiiEEvT5_PKS1_S3_PKT4_S3_S6_S3_S6_S3_S6_PS1_21rocsparse_index_base_S8_S8_S8_bb
	.p2align	8
	.type	_ZN9rocsparseL35csrgemm_symbolic_fill_block_per_rowILj1024ELj64ELj32768ELj137ELj32EiiEEvT5_PKS1_S3_PKT4_S3_S6_S3_S6_S3_S6_PS1_21rocsparse_index_base_S8_S8_S8_bb,@function
_ZN9rocsparseL35csrgemm_symbolic_fill_block_per_rowILj1024ELj64ELj32768ELj137ELj32EiiEEvT5_PKS1_S3_PKT4_S3_S6_S3_S6_S3_S6_PS1_21rocsparse_index_base_S8_S8_S8_bb: ; @_ZN9rocsparseL35csrgemm_symbolic_fill_block_per_rowILj1024ELj64ELj32768ELj137ELj32EiiEEvT5_PKS1_S3_PKT4_S3_S6_S3_S6_S3_S6_PS1_21rocsparse_index_base_S8_S8_S8_bb
; %bb.0:
	s_load_dwordx4 s[36:39], s[4:5], 0x48
	s_load_dwordx8 s[8:15], s[4:5], 0x28
	s_load_dword s33, s[4:5], 0x0
	s_load_dwordx8 s[16:23], s[4:5], 0x8
	v_or_b32_e32 v4, 0xfffffc00, v0
	v_lshl_add_u32 v5, v0, 2, 0
	s_mov_b64 s[0:1], 0
	s_waitcnt lgkmcnt(0)
	v_mov_b32_e32 v1, s33
	s_movk_i32 s2, 0x7bff
	v_mov_b32_e32 v2, v5
	v_mov_b32_e32 v3, v4
.LBB20_1:                               ; =>This Inner Loop Header: Depth=1
	v_add_u32_e32 v3, 0x400, v3
	v_cmp_lt_u32_e32 vcc, s2, v3
	ds_write_b32 v2, v1
	s_or_b64 s[0:1], vcc, s[0:1]
	v_add_u32_e32 v2, 0x1000, v2
	s_andn2_b64 exec, exec, s[0:1]
	s_cbranch_execnz .LBB20_1
; %bb.2:
	s_or_b64 exec, exec, s[0:1]
	s_load_dword s28, s[4:5], 0x68
	s_waitcnt lgkmcnt(0)
	s_barrier
	s_load_dword s2, s[16:17], 0x0
	s_load_dwordx4 s[64:67], s[4:5], 0x58
	s_bitcmp1_b32 s28, 0
	s_cselect_b64 s[0:1], -1, 0
	s_mov_b32 s3, 0
	s_waitcnt lgkmcnt(0)
	s_add_i32 s2, s2, s6
	s_lshl_b64 s[2:3], s[2:3], 2
	s_add_u32 s2, s18, s2
	s_addc_u32 s3, s19, s3
	s_load_dword s2, s[2:3], 0x0
                                        ; implicit-def: $vgpr13 : SGPR spill to VGPR lane
	s_and_b64 vcc, exec, s[0:1]
	s_waitcnt lgkmcnt(0)
	v_writelane_b32 v13, s2, 0
	v_writelane_b32 v13, s3, 1
	s_cbranch_vccz .LBB20_18
; %bb.3:
	v_readlane_b32 s0, v13, 0
	v_readlane_b32 s1, v13, 1
	s_mov_b32 s2, s0
	s_ashr_i32 s3, s0, 31
	v_writelane_b32 v13, s0, 0
	v_writelane_b32 v13, s1, 1
	s_lshl_b64 s[0:1], s[2:3], 2
	s_add_u32 s0, s20, s0
	s_addc_u32 s1, s21, s1
	s_load_dwordx2 s[2:3], s[0:1], 0x0
	v_lshrrev_b32_e32 v1, 6, v0
	v_subrev_u32_e32 v1, s64, v1
	s_waitcnt lgkmcnt(0)
	s_sub_i32 s29, s3, s64
	v_add_u32_e32 v1, s2, v1
	v_cmp_gt_i32_e32 vcc, s29, v1
	s_and_saveexec_b64 s[0:1], vcc
	s_cbranch_execz .LBB20_17
; %bb.4:
	v_and_b32_e32 v2, 63, v0
	v_subrev_u32_e32 v6, s65, v2
	s_mov_b64 s[2:3], 0
	v_mov_b32_e32 v7, s23
	v_mov_b32_e32 v8, s9
	s_movk_i32 s9, 0x89
	s_branch .LBB20_6
.LBB20_5:                               ;   in Loop: Header=BB20_6 Depth=1
	s_or_b64 exec, exec, s[4:5]
	v_add_u32_e32 v1, 16, v1
	v_cmp_le_i32_e32 vcc, s29, v1
	s_or_b64 s[2:3], vcc, s[2:3]
	s_andn2_b64 exec, exec, s[2:3]
	s_cbranch_execz .LBB20_17
.LBB20_6:                               ; =>This Loop Header: Depth=1
                                        ;     Child Loop BB20_9 Depth 2
                                        ;       Child Loop BB20_12 Depth 3
	v_ashrrev_i32_e32 v2, 31, v1
	v_lshlrev_b64 v[2:3], 2, v[1:2]
	v_add_co_u32_e32 v2, vcc, s22, v2
	v_addc_co_u32_e32 v3, vcc, v7, v3, vcc
	global_load_dword v2, v[2:3], off
	s_waitcnt vmcnt(0)
	v_subrev_u32_e32 v2, s64, v2
	v_ashrrev_i32_e32 v3, 31, v2
	v_lshlrev_b64 v[2:3], 2, v[2:3]
	v_add_co_u32_e32 v2, vcc, s8, v2
	v_addc_co_u32_e32 v3, vcc, v8, v3, vcc
	global_load_dwordx2 v[2:3], v[2:3], off
	s_waitcnt vmcnt(0)
	v_subrev_u32_e32 v9, s65, v3
	v_add_u32_e32 v2, v2, v6
	v_cmp_lt_i32_e32 vcc, v2, v9
	s_and_saveexec_b64 s[4:5], vcc
	s_cbranch_execz .LBB20_5
; %bb.7:                                ;   in Loop: Header=BB20_6 Depth=1
	s_mov_b64 s[6:7], 0
	s_branch .LBB20_9
.LBB20_8:                               ;   in Loop: Header=BB20_9 Depth=2
	s_or_b64 exec, exec, s[16:17]
	v_add_u32_e32 v2, 64, v2
	v_cmp_ge_i32_e32 vcc, v2, v9
	s_or_b64 s[6:7], vcc, s[6:7]
	s_andn2_b64 exec, exec, s[6:7]
	s_cbranch_execz .LBB20_5
.LBB20_9:                               ;   Parent Loop BB20_6 Depth=1
                                        ; =>  This Loop Header: Depth=2
                                        ;       Child Loop BB20_12 Depth 3
	v_ashrrev_i32_e32 v3, 31, v2
	v_lshlrev_b64 v[10:11], 2, v[2:3]
	v_mov_b32_e32 v3, s11
	v_add_co_u32_e32 v10, vcc, s10, v10
	v_addc_co_u32_e32 v11, vcc, v3, v11, vcc
	global_load_dword v3, v[10:11], off
	s_mov_b64 s[16:17], 0
                                        ; implicit-def: $sgpr18_sgpr19
	s_waitcnt vmcnt(0)
	v_subrev_u32_e32 v3, s65, v3
	v_mul_lo_u32 v10, v3, s9
	v_and_b32_e32 v10, 0x7fff, v10
	s_branch .LBB20_12
.LBB20_10:                              ;   in Loop: Header=BB20_12 Depth=3
	s_or_b64 exec, exec, s[24:25]
	s_andn2_b64 s[18:19], s[18:19], exec
	s_and_b64 s[24:25], s[26:27], exec
	s_or_b64 s[18:19], s[18:19], s[24:25]
.LBB20_11:                              ;   in Loop: Header=BB20_12 Depth=3
	s_or_b64 exec, exec, s[20:21]
	s_xor_b64 s[20:21], s[18:19], -1
	s_and_b64 s[20:21], exec, s[20:21]
	s_or_b64 s[16:17], s[20:21], s[16:17]
	s_andn2_b64 exec, exec, s[16:17]
	s_cbranch_execz .LBB20_8
.LBB20_12:                              ;   Parent Loop BB20_6 Depth=1
                                        ;     Parent Loop BB20_9 Depth=2
                                        ; =>    This Inner Loop Header: Depth=3
	v_lshl_add_u32 v11, v10, 2, 0
	ds_read_b32 v12, v11
	s_andn2_b64 s[18:19], s[18:19], exec
	s_waitcnt lgkmcnt(0)
	v_cmp_ne_u32_e32 vcc, v12, v3
	s_and_saveexec_b64 s[20:21], vcc
	s_cbranch_execz .LBB20_11
; %bb.13:                               ;   in Loop: Header=BB20_12 Depth=3
	v_cmp_ne_u32_e32 vcc, s33, v12
	s_and_saveexec_b64 s[24:25], vcc
	s_xor_b64 s[24:25], exec, s[24:25]
; %bb.14:                               ;   in Loop: Header=BB20_12 Depth=3
	v_add_u32_e32 v10, 1, v10
	v_and_b32_e32 v10, 0x7fff, v10
                                        ; implicit-def: $vgpr11
; %bb.15:                               ;   in Loop: Header=BB20_12 Depth=3
	s_or_saveexec_b64 s[24:25], s[24:25]
	s_mov_b64 s[26:27], -1
	s_xor_b64 exec, exec, s[24:25]
	s_cbranch_execz .LBB20_10
; %bb.16:                               ;   in Loop: Header=BB20_12 Depth=3
	v_mov_b32_e32 v12, s33
	ds_cmpst_rtn_b32 v11, v11, v12, v3
	s_waitcnt lgkmcnt(0)
	v_cmp_ne_u32_e32 vcc, s33, v11
	s_orn2_b64 s[26:27], vcc, exec
	s_branch .LBB20_10
.LBB20_17:
	s_or_b64 exec, exec, s[0:1]
.LBB20_18:
	s_bfe_u32 s0, s28, 0x10008
	s_cmp_eq_u32 s0, 0
	s_cbranch_scc1 .LBB20_31
; %bb.19:
	v_readlane_b32 s0, v13, 0
	v_readlane_b32 s1, v13, 1
	s_mov_b32 s2, s0
	s_ashr_i32 s3, s0, 31
	v_writelane_b32 v13, s0, 0
	v_writelane_b32 v13, s1, 1
	s_lshl_b64 s[0:1], s[2:3], 2
	s_add_u32 s0, s12, s0
	s_addc_u32 s1, s13, s1
	s_load_dwordx2 s[2:3], s[0:1], 0x0
	v_subrev_u32_e32 v1, s67, v0
	s_waitcnt lgkmcnt(0)
	s_sub_i32 s16, s3, s67
	v_add_u32_e32 v1, s2, v1
	v_cmp_gt_i32_e32 vcc, s16, v1
	s_and_saveexec_b64 s[0:1], vcc
	s_cbranch_execz .LBB20_30
; %bb.20:
	s_mov_b64 s[2:3], 0
	v_mov_b32_e32 v3, s15
	s_movk_i32 s15, 0x89
	s_branch .LBB20_22
.LBB20_21:                              ;   in Loop: Header=BB20_22 Depth=1
	s_or_b64 exec, exec, s[4:5]
	v_add_u32_e32 v1, 0x400, v1
	v_cmp_le_i32_e32 vcc, s16, v1
	s_or_b64 s[2:3], vcc, s[2:3]
	s_andn2_b64 exec, exec, s[2:3]
	s_cbranch_execz .LBB20_30
.LBB20_22:                              ; =>This Loop Header: Depth=1
                                        ;     Child Loop BB20_25 Depth 2
	v_ashrrev_i32_e32 v2, 31, v1
	v_lshlrev_b64 v[6:7], 2, v[1:2]
	s_mov_b64 s[4:5], 0
	v_add_co_u32_e32 v6, vcc, s14, v6
	v_addc_co_u32_e32 v7, vcc, v3, v7, vcc
	global_load_dword v2, v[6:7], off
                                        ; implicit-def: $sgpr6_sgpr7
	s_waitcnt vmcnt(0)
	v_subrev_u32_e32 v2, s67, v2
	v_mul_lo_u32 v6, v2, s15
	v_and_b32_e32 v6, 0x7fff, v6
	s_branch .LBB20_25
.LBB20_23:                              ;   in Loop: Header=BB20_25 Depth=2
	s_or_b64 exec, exec, s[10:11]
	s_andn2_b64 s[6:7], s[6:7], exec
	s_and_b64 s[10:11], s[12:13], exec
	s_or_b64 s[6:7], s[6:7], s[10:11]
.LBB20_24:                              ;   in Loop: Header=BB20_25 Depth=2
	s_or_b64 exec, exec, s[8:9]
	s_xor_b64 s[8:9], s[6:7], -1
	s_and_b64 s[8:9], exec, s[8:9]
	s_or_b64 s[4:5], s[8:9], s[4:5]
	s_andn2_b64 exec, exec, s[4:5]
	s_cbranch_execz .LBB20_21
.LBB20_25:                              ;   Parent Loop BB20_22 Depth=1
                                        ; =>  This Inner Loop Header: Depth=2
	v_lshl_add_u32 v7, v6, 2, 0
	ds_read_b32 v8, v7
	s_andn2_b64 s[6:7], s[6:7], exec
	s_waitcnt lgkmcnt(0)
	v_cmp_ne_u32_e32 vcc, v8, v2
	s_and_saveexec_b64 s[8:9], vcc
	s_cbranch_execz .LBB20_24
; %bb.26:                               ;   in Loop: Header=BB20_25 Depth=2
	v_cmp_ne_u32_e32 vcc, s33, v8
	s_and_saveexec_b64 s[10:11], vcc
	s_xor_b64 s[10:11], exec, s[10:11]
; %bb.27:                               ;   in Loop: Header=BB20_25 Depth=2
	v_add_u32_e32 v6, 1, v6
	v_and_b32_e32 v6, 0x7fff, v6
                                        ; implicit-def: $vgpr7
; %bb.28:                               ;   in Loop: Header=BB20_25 Depth=2
	s_or_saveexec_b64 s[10:11], s[10:11]
	s_mov_b64 s[12:13], -1
	s_xor_b64 exec, exec, s[10:11]
	s_cbranch_execz .LBB20_23
; %bb.29:                               ;   in Loop: Header=BB20_25 Depth=2
	v_mov_b32_e32 v8, s33
	ds_cmpst_rtn_b32 v7, v7, v8, v2
	s_waitcnt lgkmcnt(0)
	v_cmp_ne_u32_e32 vcc, s33, v7
	s_orn2_b64 s[12:13], vcc, exec
	s_branch .LBB20_23
.LBB20_30:
	s_or_b64 exec, exec, s[0:1]
.LBB20_31:
	v_writelane_b32 v13, s36, 2
	v_writelane_b32 v13, s37, 3
	;; [unrolled: 1-line block ×4, first 2 shown]
	s_add_i32 s0, 0, 0x20000
	v_writelane_b32 v13, s0, 6
	s_add_i32 s60, 0, 0x20004
	v_writelane_b32 v13, s60, 7
	;; [unrolled: 2-line block ×4, first 2 shown]
	s_add_i32 s60, 0, 0x20010
	v_mbcnt_lo_u32_b32 v1, -1, 0
	v_lshrrev_b32_e32 v3, 3, v0
	v_writelane_b32 v13, s60, 10
	s_add_i32 s60, 0, 0x20014
	v_mbcnt_hi_u32_b32 v1, -1, v1
	v_and_b32_e32 v3, 0x7c, v3
	v_writelane_b32 v13, s60, 11
	s_add_i32 s60, 0, 0x20018
	v_sub_u32_e32 v1, 63, v1
	v_add_u32_e32 v3, s0, v3
	s_movk_i32 s0, 0x3ff
	v_writelane_b32 v13, s60, 12
	s_add_i32 s60, 0, 0x2001c
	v_lshrrev_b64 v[1:2], v1, -1
	v_cmp_eq_u32_e32 vcc, s0, v0
	s_movk_i32 s0, 0x5f
	s_movk_i32 s2, 0x7f
	;; [unrolled: 1-line block ×29, first 2 shown]
	v_writelane_b32 v13, s60, 13
	s_add_i32 s60, 0, 0x20024
	v_cmp_lt_u32_e64 s[0:1], s0, v0
	v_cmp_lt_u32_e64 s[2:3], s2, v0
	v_cmp_lt_u32_e64 s[4:5], s4, v0
	v_cmp_lt_u32_e64 s[6:7], s6, v0
	v_cmp_lt_u32_e64 s[8:9], s8, v0
	v_cmp_lt_u32_e64 s[10:11], s10, v0
	v_cmp_lt_u32_e64 s[12:13], s12, v0
	v_cmp_lt_u32_e64 s[14:15], s14, v0
	v_cmp_lt_u32_e64 s[16:17], s16, v0
	v_cmp_lt_u32_e64 s[18:19], s18, v0
	v_cmp_lt_u32_e64 s[20:21], s20, v0
	v_cmp_lt_u32_e64 s[22:23], s22, v0
	v_cmp_lt_u32_e64 s[24:25], s24, v0
	v_cmp_lt_u32_e64 s[26:27], s26, v0
	v_cmp_lt_u32_e64 s[28:29], s28, v0
	v_cmp_lt_u32_e64 s[30:31], s30, v0
	v_cmp_lt_u32_e64 s[34:35], s34, v0
	v_cmp_lt_u32_e64 s[36:37], s36, v0
	v_cmp_lt_u32_e64 s[38:39], s38, v0
	v_cmp_lt_u32_e64 s[40:41], s40, v0
	v_cmp_lt_u32_e64 s[42:43], s42, v0
	v_cmp_lt_u32_e64 s[44:45], s44, v0
	v_cmp_lt_u32_e64 s[46:47], s46, v0
	v_cmp_lt_u32_e64 s[48:49], s48, v0
	v_cmp_lt_u32_e64 s[50:51], s50, v0
	v_cmp_lt_u32_e64 s[52:53], s52, v0
	v_cmp_lt_u32_e64 s[54:55], s54, v0
	v_cmp_lt_u32_e64 s[56:57], s56, v0
	v_mov_b32_e32 v6, 0
	v_cmp_lt_u32_e64 s[58:59], s58, v0
	s_add_i32 s83, 0, 0x20020
	v_writelane_b32 v13, s60, 14
	s_add_i32 s86, 0, 0x20028
	s_add_i32 s87, 0, 0x2002c
	;; [unrolled: 1-line block ×22, first 2 shown]
	v_cmp_lt_u32_e64 s[60:61], 31, v0
	v_cmp_lt_u32_e64 s[62:63], 63, v0
	s_mov_b64 s[74:75], 0
	s_barrier
	s_branch .LBB20_33
.LBB20_32:                              ;   in Loop: Header=BB20_33 Depth=1
	s_or_b64 exec, exec, s[64:65]
	v_mov_b32_e32 v7, s82
	s_waitcnt lgkmcnt(0)
	s_barrier
	ds_read_b32 v7, v7
	v_add_u32_e32 v4, 0x400, v4
	s_movk_i32 s64, 0x7bff
	v_cmp_lt_u32_e64 s[64:65], s64, v4
	s_or_b64 s[74:75], s[64:65], s[74:75]
	s_waitcnt lgkmcnt(0)
	v_add_u32_e32 v6, v7, v6
	v_add_u32_e32 v5, 0x1000, v5
	s_andn2_b64 exec, exec, s[74:75]
	s_cbranch_execz .LBB20_99
.LBB20_33:                              ; =>This Inner Loop Header: Depth=1
	ds_read_b32 v7, v5
	s_waitcnt lgkmcnt(0)
	s_barrier
	v_cmp_gt_i32_e64 s[64:65], s33, v7
	v_and_b32_e32 v9, s64, v1
	s_bcnt1_i32_b64 s76, s[64:65]
	v_and_b32_e32 v8, s65, v2
	v_bcnt_u32_b32 v9, v9, 0
	v_bcnt_u32_b32 v8, v8, v9
	v_mov_b32_e32 v9, s76
	ds_write_b32 v3, v9
	s_waitcnt lgkmcnt(0)
	s_barrier
	s_and_saveexec_b64 s[76:77], s[60:61]
	s_cbranch_execnz .LBB20_66
; %bb.34:                               ;   in Loop: Header=BB20_33 Depth=1
	s_or_b64 exec, exec, s[76:77]
	s_and_saveexec_b64 s[76:77], s[62:63]
	s_cbranch_execnz .LBB20_67
.LBB20_35:                              ;   in Loop: Header=BB20_33 Depth=1
	s_or_b64 exec, exec, s[76:77]
	s_and_saveexec_b64 s[76:77], s[0:1]
	s_cbranch_execnz .LBB20_68
.LBB20_36:                              ;   in Loop: Header=BB20_33 Depth=1
	s_or_b64 exec, exec, s[76:77]
	s_and_saveexec_b64 s[76:77], s[2:3]
	s_cbranch_execnz .LBB20_69
.LBB20_37:                              ;   in Loop: Header=BB20_33 Depth=1
	s_or_b64 exec, exec, s[76:77]
	s_and_saveexec_b64 s[76:77], s[4:5]
	s_cbranch_execnz .LBB20_70
.LBB20_38:                              ;   in Loop: Header=BB20_33 Depth=1
	s_or_b64 exec, exec, s[76:77]
	s_and_saveexec_b64 s[76:77], s[6:7]
	s_cbranch_execnz .LBB20_71
.LBB20_39:                              ;   in Loop: Header=BB20_33 Depth=1
	s_or_b64 exec, exec, s[76:77]
	s_and_saveexec_b64 s[76:77], s[8:9]
	s_cbranch_execnz .LBB20_72
.LBB20_40:                              ;   in Loop: Header=BB20_33 Depth=1
	s_or_b64 exec, exec, s[76:77]
	s_and_saveexec_b64 s[76:77], s[10:11]
	s_cbranch_execnz .LBB20_73
.LBB20_41:                              ;   in Loop: Header=BB20_33 Depth=1
	s_or_b64 exec, exec, s[76:77]
	s_and_saveexec_b64 s[76:77], s[12:13]
	s_cbranch_execnz .LBB20_74
.LBB20_42:                              ;   in Loop: Header=BB20_33 Depth=1
	s_or_b64 exec, exec, s[76:77]
	s_and_saveexec_b64 s[76:77], s[14:15]
	s_cbranch_execnz .LBB20_75
.LBB20_43:                              ;   in Loop: Header=BB20_33 Depth=1
	s_or_b64 exec, exec, s[76:77]
	s_and_saveexec_b64 s[76:77], s[16:17]
	s_cbranch_execnz .LBB20_76
.LBB20_44:                              ;   in Loop: Header=BB20_33 Depth=1
	s_or_b64 exec, exec, s[76:77]
	s_and_saveexec_b64 s[76:77], s[18:19]
	s_cbranch_execnz .LBB20_77
.LBB20_45:                              ;   in Loop: Header=BB20_33 Depth=1
	s_or_b64 exec, exec, s[76:77]
	s_and_saveexec_b64 s[76:77], s[20:21]
	s_cbranch_execnz .LBB20_78
.LBB20_46:                              ;   in Loop: Header=BB20_33 Depth=1
	s_or_b64 exec, exec, s[76:77]
	s_and_saveexec_b64 s[76:77], s[22:23]
	s_cbranch_execnz .LBB20_79
.LBB20_47:                              ;   in Loop: Header=BB20_33 Depth=1
	s_or_b64 exec, exec, s[76:77]
	s_and_saveexec_b64 s[76:77], s[24:25]
	s_cbranch_execnz .LBB20_80
.LBB20_48:                              ;   in Loop: Header=BB20_33 Depth=1
	s_or_b64 exec, exec, s[76:77]
	s_and_saveexec_b64 s[76:77], s[26:27]
	s_cbranch_execnz .LBB20_81
.LBB20_49:                              ;   in Loop: Header=BB20_33 Depth=1
	s_or_b64 exec, exec, s[76:77]
	s_and_saveexec_b64 s[76:77], s[28:29]
	s_cbranch_execnz .LBB20_82
.LBB20_50:                              ;   in Loop: Header=BB20_33 Depth=1
	s_or_b64 exec, exec, s[76:77]
	s_and_saveexec_b64 s[76:77], s[30:31]
	s_cbranch_execnz .LBB20_83
.LBB20_51:                              ;   in Loop: Header=BB20_33 Depth=1
	s_or_b64 exec, exec, s[76:77]
	s_and_saveexec_b64 s[76:77], s[34:35]
	s_cbranch_execnz .LBB20_84
.LBB20_52:                              ;   in Loop: Header=BB20_33 Depth=1
	s_or_b64 exec, exec, s[76:77]
	s_and_saveexec_b64 s[76:77], s[36:37]
	s_cbranch_execnz .LBB20_85
.LBB20_53:                              ;   in Loop: Header=BB20_33 Depth=1
	s_or_b64 exec, exec, s[76:77]
	s_and_saveexec_b64 s[76:77], s[38:39]
	s_cbranch_execnz .LBB20_86
.LBB20_54:                              ;   in Loop: Header=BB20_33 Depth=1
	s_or_b64 exec, exec, s[76:77]
	s_and_saveexec_b64 s[76:77], s[40:41]
	s_cbranch_execnz .LBB20_87
.LBB20_55:                              ;   in Loop: Header=BB20_33 Depth=1
	s_or_b64 exec, exec, s[76:77]
	s_and_saveexec_b64 s[76:77], s[42:43]
	s_cbranch_execnz .LBB20_88
.LBB20_56:                              ;   in Loop: Header=BB20_33 Depth=1
	s_or_b64 exec, exec, s[76:77]
	s_and_saveexec_b64 s[76:77], s[44:45]
	s_cbranch_execnz .LBB20_89
.LBB20_57:                              ;   in Loop: Header=BB20_33 Depth=1
	s_or_b64 exec, exec, s[76:77]
	s_and_saveexec_b64 s[76:77], s[46:47]
	s_cbranch_execnz .LBB20_90
.LBB20_58:                              ;   in Loop: Header=BB20_33 Depth=1
	s_or_b64 exec, exec, s[76:77]
	s_and_saveexec_b64 s[76:77], s[48:49]
	s_cbranch_execnz .LBB20_91
.LBB20_59:                              ;   in Loop: Header=BB20_33 Depth=1
	s_or_b64 exec, exec, s[76:77]
	s_and_saveexec_b64 s[76:77], s[50:51]
	s_cbranch_execnz .LBB20_92
.LBB20_60:                              ;   in Loop: Header=BB20_33 Depth=1
	s_or_b64 exec, exec, s[76:77]
	s_and_saveexec_b64 s[76:77], s[52:53]
	s_cbranch_execnz .LBB20_93
.LBB20_61:                              ;   in Loop: Header=BB20_33 Depth=1
	s_or_b64 exec, exec, s[76:77]
	s_and_saveexec_b64 s[76:77], s[54:55]
	s_cbranch_execnz .LBB20_94
.LBB20_62:                              ;   in Loop: Header=BB20_33 Depth=1
	s_or_b64 exec, exec, s[76:77]
	s_and_saveexec_b64 s[76:77], s[56:57]
	s_cbranch_execnz .LBB20_95
.LBB20_63:                              ;   in Loop: Header=BB20_33 Depth=1
	s_or_b64 exec, exec, s[76:77]
	s_and_saveexec_b64 s[76:77], s[58:59]
	s_cbranch_execnz .LBB20_96
.LBB20_64:                              ;   in Loop: Header=BB20_33 Depth=1
	s_or_b64 exec, exec, s[76:77]
	s_and_saveexec_b64 s[76:77], s[64:65]
	s_cbranch_execnz .LBB20_97
.LBB20_65:                              ;   in Loop: Header=BB20_33 Depth=1
	s_or_b64 exec, exec, s[76:77]
	s_and_saveexec_b64 s[64:65], vcc
	s_cbranch_execz .LBB20_32
	s_branch .LBB20_98
.LBB20_66:                              ;   in Loop: Header=BB20_33 Depth=1
	v_readlane_b32 s84, v13, 6
	v_mov_b32_e32 v9, s84
	ds_read_b32 v9, v9
	s_waitcnt lgkmcnt(0)
	v_add_u32_e32 v8, v9, v8
	s_or_b64 exec, exec, s[76:77]
	s_and_saveexec_b64 s[76:77], s[62:63]
	s_cbranch_execz .LBB20_35
.LBB20_67:                              ;   in Loop: Header=BB20_33 Depth=1
	v_readlane_b32 s84, v13, 7
	v_mov_b32_e32 v9, s84
	ds_read_b32 v9, v9
	s_waitcnt lgkmcnt(0)
	v_add_u32_e32 v8, v9, v8
	s_or_b64 exec, exec, s[76:77]
	s_and_saveexec_b64 s[76:77], s[0:1]
	s_cbranch_execz .LBB20_36
.LBB20_68:                              ;   in Loop: Header=BB20_33 Depth=1
	v_readlane_b32 s84, v13, 8
	v_mov_b32_e32 v9, s84
	ds_read_b32 v9, v9
	s_waitcnt lgkmcnt(0)
	v_add_u32_e32 v8, v9, v8
	s_or_b64 exec, exec, s[76:77]
	s_and_saveexec_b64 s[76:77], s[2:3]
	s_cbranch_execz .LBB20_37
.LBB20_69:                              ;   in Loop: Header=BB20_33 Depth=1
	v_readlane_b32 s84, v13, 9
	v_mov_b32_e32 v9, s84
	ds_read_b32 v9, v9
	s_waitcnt lgkmcnt(0)
	v_add_u32_e32 v8, v9, v8
	s_or_b64 exec, exec, s[76:77]
	s_and_saveexec_b64 s[76:77], s[4:5]
	s_cbranch_execz .LBB20_38
.LBB20_70:                              ;   in Loop: Header=BB20_33 Depth=1
	v_readlane_b32 s84, v13, 10
	v_mov_b32_e32 v9, s84
	ds_read_b32 v9, v9
	s_waitcnt lgkmcnt(0)
	v_add_u32_e32 v8, v9, v8
	s_or_b64 exec, exec, s[76:77]
	s_and_saveexec_b64 s[76:77], s[6:7]
	s_cbranch_execz .LBB20_39
.LBB20_71:                              ;   in Loop: Header=BB20_33 Depth=1
	v_readlane_b32 s84, v13, 11
	v_mov_b32_e32 v9, s84
	ds_read_b32 v9, v9
	s_waitcnt lgkmcnt(0)
	v_add_u32_e32 v8, v9, v8
	s_or_b64 exec, exec, s[76:77]
	s_and_saveexec_b64 s[76:77], s[8:9]
	s_cbranch_execz .LBB20_40
.LBB20_72:                              ;   in Loop: Header=BB20_33 Depth=1
	v_readlane_b32 s84, v13, 12
	v_mov_b32_e32 v9, s84
	ds_read_b32 v9, v9
	s_waitcnt lgkmcnt(0)
	v_add_u32_e32 v8, v9, v8
	s_or_b64 exec, exec, s[76:77]
	s_and_saveexec_b64 s[76:77], s[10:11]
	s_cbranch_execz .LBB20_41
.LBB20_73:                              ;   in Loop: Header=BB20_33 Depth=1
	v_readlane_b32 s84, v13, 13
	v_mov_b32_e32 v9, s84
	ds_read_b32 v9, v9
	s_waitcnt lgkmcnt(0)
	v_add_u32_e32 v8, v9, v8
	s_or_b64 exec, exec, s[76:77]
	s_and_saveexec_b64 s[76:77], s[12:13]
	s_cbranch_execz .LBB20_42
.LBB20_74:                              ;   in Loop: Header=BB20_33 Depth=1
	v_mov_b32_e32 v9, s83
	ds_read_b32 v9, v9
	s_waitcnt lgkmcnt(0)
	v_add_u32_e32 v8, v9, v8
	s_or_b64 exec, exec, s[76:77]
	s_and_saveexec_b64 s[76:77], s[14:15]
	s_cbranch_execz .LBB20_43
.LBB20_75:                              ;   in Loop: Header=BB20_33 Depth=1
	v_readlane_b32 s84, v13, 14
	v_mov_b32_e32 v9, s84
	ds_read_b32 v9, v9
	s_waitcnt lgkmcnt(0)
	v_add_u32_e32 v8, v9, v8
	s_or_b64 exec, exec, s[76:77]
	s_and_saveexec_b64 s[76:77], s[16:17]
	s_cbranch_execz .LBB20_44
.LBB20_76:                              ;   in Loop: Header=BB20_33 Depth=1
	v_mov_b32_e32 v9, s86
	ds_read_b32 v9, v9
	s_waitcnt lgkmcnt(0)
	v_add_u32_e32 v8, v9, v8
	s_or_b64 exec, exec, s[76:77]
	s_and_saveexec_b64 s[76:77], s[18:19]
	s_cbranch_execz .LBB20_45
.LBB20_77:                              ;   in Loop: Header=BB20_33 Depth=1
	v_mov_b32_e32 v9, s87
	ds_read_b32 v9, v9
	s_waitcnt lgkmcnt(0)
	v_add_u32_e32 v8, v9, v8
	s_or_b64 exec, exec, s[76:77]
	s_and_saveexec_b64 s[76:77], s[20:21]
	s_cbranch_execz .LBB20_46
.LBB20_78:                              ;   in Loop: Header=BB20_33 Depth=1
	v_mov_b32_e32 v9, s88
	ds_read_b32 v9, v9
	s_waitcnt lgkmcnt(0)
	v_add_u32_e32 v8, v9, v8
	s_or_b64 exec, exec, s[76:77]
	s_and_saveexec_b64 s[76:77], s[22:23]
	s_cbranch_execz .LBB20_47
.LBB20_79:                              ;   in Loop: Header=BB20_33 Depth=1
	v_mov_b32_e32 v9, s89
	ds_read_b32 v9, v9
	s_waitcnt lgkmcnt(0)
	v_add_u32_e32 v8, v9, v8
	s_or_b64 exec, exec, s[76:77]
	s_and_saveexec_b64 s[76:77], s[24:25]
	s_cbranch_execz .LBB20_48
.LBB20_80:                              ;   in Loop: Header=BB20_33 Depth=1
	v_mov_b32_e32 v9, s90
	ds_read_b32 v9, v9
	s_waitcnt lgkmcnt(0)
	v_add_u32_e32 v8, v9, v8
	s_or_b64 exec, exec, s[76:77]
	s_and_saveexec_b64 s[76:77], s[26:27]
	s_cbranch_execz .LBB20_49
.LBB20_81:                              ;   in Loop: Header=BB20_33 Depth=1
	v_mov_b32_e32 v9, s91
	ds_read_b32 v9, v9
	s_waitcnt lgkmcnt(0)
	v_add_u32_e32 v8, v9, v8
	s_or_b64 exec, exec, s[76:77]
	s_and_saveexec_b64 s[76:77], s[28:29]
	s_cbranch_execz .LBB20_50
.LBB20_82:                              ;   in Loop: Header=BB20_33 Depth=1
	v_mov_b32_e32 v9, s92
	ds_read_b32 v9, v9
	s_waitcnt lgkmcnt(0)
	v_add_u32_e32 v8, v9, v8
	s_or_b64 exec, exec, s[76:77]
	s_and_saveexec_b64 s[76:77], s[30:31]
	s_cbranch_execz .LBB20_51
.LBB20_83:                              ;   in Loop: Header=BB20_33 Depth=1
	v_mov_b32_e32 v9, s93
	ds_read_b32 v9, v9
	s_waitcnt lgkmcnt(0)
	v_add_u32_e32 v8, v9, v8
	s_or_b64 exec, exec, s[76:77]
	s_and_saveexec_b64 s[76:77], s[34:35]
	s_cbranch_execz .LBB20_52
.LBB20_84:                              ;   in Loop: Header=BB20_33 Depth=1
	v_mov_b32_e32 v9, s94
	ds_read_b32 v9, v9
	s_waitcnt lgkmcnt(0)
	v_add_u32_e32 v8, v9, v8
	s_or_b64 exec, exec, s[76:77]
	s_and_saveexec_b64 s[76:77], s[36:37]
	s_cbranch_execz .LBB20_53
.LBB20_85:                              ;   in Loop: Header=BB20_33 Depth=1
	v_mov_b32_e32 v9, s95
	ds_read_b32 v9, v9
	s_waitcnt lgkmcnt(0)
	v_add_u32_e32 v8, v9, v8
	s_or_b64 exec, exec, s[76:77]
	s_and_saveexec_b64 s[76:77], s[38:39]
	s_cbranch_execz .LBB20_54
.LBB20_86:                              ;   in Loop: Header=BB20_33 Depth=1
	v_mov_b32_e32 v9, s72
	ds_read_b32 v9, v9
	s_waitcnt lgkmcnt(0)
	v_add_u32_e32 v8, v9, v8
	s_or_b64 exec, exec, s[76:77]
	s_and_saveexec_b64 s[76:77], s[40:41]
	s_cbranch_execz .LBB20_55
.LBB20_87:                              ;   in Loop: Header=BB20_33 Depth=1
	v_mov_b32_e32 v9, s68
	ds_read_b32 v9, v9
	s_waitcnt lgkmcnt(0)
	v_add_u32_e32 v8, v9, v8
	s_or_b64 exec, exec, s[76:77]
	s_and_saveexec_b64 s[76:77], s[42:43]
	s_cbranch_execz .LBB20_56
.LBB20_88:                              ;   in Loop: Header=BB20_33 Depth=1
	v_mov_b32_e32 v9, s69
	ds_read_b32 v9, v9
	s_waitcnt lgkmcnt(0)
	v_add_u32_e32 v8, v9, v8
	s_or_b64 exec, exec, s[76:77]
	s_and_saveexec_b64 s[76:77], s[44:45]
	s_cbranch_execz .LBB20_57
.LBB20_89:                              ;   in Loop: Header=BB20_33 Depth=1
	v_mov_b32_e32 v9, s70
	ds_read_b32 v9, v9
	s_waitcnt lgkmcnt(0)
	v_add_u32_e32 v8, v9, v8
	s_or_b64 exec, exec, s[76:77]
	s_and_saveexec_b64 s[76:77], s[46:47]
	s_cbranch_execz .LBB20_58
.LBB20_90:                              ;   in Loop: Header=BB20_33 Depth=1
	v_mov_b32_e32 v9, s71
	ds_read_b32 v9, v9
	s_waitcnt lgkmcnt(0)
	v_add_u32_e32 v8, v9, v8
	s_or_b64 exec, exec, s[76:77]
	s_and_saveexec_b64 s[76:77], s[48:49]
	s_cbranch_execz .LBB20_59
.LBB20_91:                              ;   in Loop: Header=BB20_33 Depth=1
	v_mov_b32_e32 v9, s67
	ds_read_b32 v9, v9
	s_waitcnt lgkmcnt(0)
	v_add_u32_e32 v8, v9, v8
	s_or_b64 exec, exec, s[76:77]
	s_and_saveexec_b64 s[76:77], s[50:51]
	s_cbranch_execz .LBB20_60
.LBB20_92:                              ;   in Loop: Header=BB20_33 Depth=1
	v_mov_b32_e32 v9, s73
	ds_read_b32 v9, v9
	s_waitcnt lgkmcnt(0)
	v_add_u32_e32 v8, v9, v8
	s_or_b64 exec, exec, s[76:77]
	s_and_saveexec_b64 s[76:77], s[52:53]
	s_cbranch_execz .LBB20_61
.LBB20_93:                              ;   in Loop: Header=BB20_33 Depth=1
	v_mov_b32_e32 v9, s78
	ds_read_b32 v9, v9
	s_waitcnt lgkmcnt(0)
	v_add_u32_e32 v8, v9, v8
	s_or_b64 exec, exec, s[76:77]
	s_and_saveexec_b64 s[76:77], s[54:55]
	s_cbranch_execz .LBB20_62
.LBB20_94:                              ;   in Loop: Header=BB20_33 Depth=1
	v_mov_b32_e32 v9, s79
	ds_read_b32 v9, v9
	s_waitcnt lgkmcnt(0)
	v_add_u32_e32 v8, v9, v8
	s_or_b64 exec, exec, s[76:77]
	s_and_saveexec_b64 s[76:77], s[56:57]
	s_cbranch_execz .LBB20_63
.LBB20_95:                              ;   in Loop: Header=BB20_33 Depth=1
	v_mov_b32_e32 v9, s80
	ds_read_b32 v9, v9
	s_waitcnt lgkmcnt(0)
	v_add_u32_e32 v8, v9, v8
	s_or_b64 exec, exec, s[76:77]
	s_and_saveexec_b64 s[76:77], s[58:59]
	s_cbranch_execz .LBB20_64
.LBB20_96:                              ;   in Loop: Header=BB20_33 Depth=1
	v_mov_b32_e32 v9, s81
	ds_read_b32 v9, v9
	s_waitcnt lgkmcnt(0)
	v_add_u32_e32 v8, v9, v8
	s_or_b64 exec, exec, s[76:77]
	s_and_saveexec_b64 s[76:77], s[64:65]
	s_cbranch_execz .LBB20_65
.LBB20_97:                              ;   in Loop: Header=BB20_33 Depth=1
	v_lshlrev_b32_e32 v9, 2, v6
	v_add_u32_e32 v9, 0, v9
	v_lshlrev_b32_e32 v10, 2, v8
	v_add3_u32 v9, v9, v10, -4
	ds_write_b32 v9, v7
	s_or_b64 exec, exec, s[76:77]
	s_and_saveexec_b64 s[64:65], vcc
	s_cbranch_execz .LBB20_32
.LBB20_98:                              ;   in Loop: Header=BB20_33 Depth=1
	v_mov_b32_e32 v7, s82
	ds_write_b32 v7, v8
	s_branch .LBB20_32
.LBB20_99:
	s_or_b64 exec, exec, s[74:75]
	v_readlane_b32 s0, v13, 0
	v_readlane_b32 s1, v13, 1
	s_ashr_i32 s1, s0, 31
	s_lshl_b64 s[0:1], s[0:1], 2
	v_readlane_b32 s12, v13, 2
	v_readlane_b32 s13, v13, 3
	s_add_u32 s2, s12, s0
	s_addc_u32 s3, s13, s1
	s_load_dwordx2 s[0:1], s[2:3], 0x0
	v_readlane_b32 s14, v13, 4
	v_readlane_b32 s15, v13, 5
	s_waitcnt lgkmcnt(0)
	s_sub_i32 s6, s1, s0
	v_cmp_gt_i32_e32 vcc, s6, v0
	s_and_saveexec_b64 s[2:3], vcc
	s_cbranch_execz .LBB20_109
; %bb.100:
	s_sub_i32 s7, s0, s66
	s_and_b32 s8, s6, 7
	s_sub_i32 s0, s0, s1
	s_cmp_lt_u32 s0, -7
	s_cselect_b64 s[0:1], -1, 0
	s_and_b32 s9, s6, -8
	s_cmp_lg_u32 s8, 0
	v_cndmask_b32_e64 v1, 0, 1, s[0:1]
	s_cselect_b64 s[2:3], -1, 0
	v_cmp_ne_u32_e64 s[0:1], 1, v1
	v_cndmask_b32_e64 v1, 0, 1, s[2:3]
	s_mov_b64 s[4:5], 0
	v_cmp_ne_u32_e64 s[2:3], 1, v1
	v_mov_b32_e32 v3, s15
	s_branch .LBB20_102
.LBB20_101:                             ;   in Loop: Header=BB20_102 Depth=1
	s_waitcnt lgkmcnt(0)
	v_add_u32_e32 v4, s66, v2
	v_ashrrev_i32_e32 v2, 31, v1
	v_lshlrev_b64 v[1:2], 2, v[1:2]
	v_add_u32_e32 v0, 0x400, v0
	v_add_co_u32_e32 v1, vcc, s14, v1
	v_addc_co_u32_e32 v2, vcc, v3, v2, vcc
	v_cmp_le_i32_e32 vcc, s6, v0
	s_or_b64 s[4:5], vcc, s[4:5]
	global_store_dword v[1:2], v4, off
	s_andn2_b64 exec, exec, s[4:5]
	s_cbranch_execz .LBB20_109
.LBB20_102:                             ; =>This Loop Header: Depth=1
                                        ;     Child Loop BB20_104 Depth 2
                                        ;     Child Loop BB20_108 Depth 2
	v_lshl_add_u32 v1, v0, 2, 0
	ds_read_b32 v2, v1
	s_and_b64 vcc, exec, s[0:1]
	v_mov_b32_e32 v1, s7
	s_mov_b32 s10, 0
	s_cbranch_vccnz .LBB20_106
; %bb.103:                              ;   in Loop: Header=BB20_102 Depth=1
	s_mov_b32 s11, 0
	v_mov_b32_e32 v1, s7
.LBB20_104:                             ;   Parent Loop BB20_102 Depth=1
                                        ; =>  This Inner Loop Header: Depth=2
	v_mov_b32_e32 v10, s11
	ds_read2_b32 v[4:5], v10 offset1:1
	ds_read2_b32 v[6:7], v10 offset0:2 offset1:3
	ds_read2_b32 v[8:9], v10 offset0:4 offset1:5
	;; [unrolled: 1-line block ×3, first 2 shown]
	s_add_i32 s10, s10, 8
	s_waitcnt lgkmcnt(3)
	v_cmp_gt_i32_e32 vcc, v2, v4
	v_cndmask_b32_e64 v4, 0, 1, vcc
	s_waitcnt lgkmcnt(2)
	v_cmp_gt_i32_e32 vcc, v2, v6
	v_cndmask_b32_e64 v6, 0, 1, vcc
	;; [unrolled: 3-line block ×4, first 2 shown]
	v_cmp_gt_i32_e32 vcc, v2, v5
	v_addc_co_u32_e32 v1, vcc, v1, v4, vcc
	v_cmp_gt_i32_e32 vcc, v2, v7
	v_addc_co_u32_e32 v1, vcc, v1, v6, vcc
	;; [unrolled: 2-line block ×3, first 2 shown]
	s_add_i32 s11, s11, 32
	v_cmp_gt_i32_e32 vcc, v2, v11
	s_cmp_eq_u32 s9, s10
	v_addc_co_u32_e32 v1, vcc, v1, v10, vcc
	s_cbranch_scc0 .LBB20_104
; %bb.105:                              ;   in Loop: Header=BB20_102 Depth=1
	s_mov_b32 s10, s9
.LBB20_106:                             ;   in Loop: Header=BB20_102 Depth=1
	s_and_b64 vcc, exec, s[2:3]
	s_cbranch_vccnz .LBB20_101
; %bb.107:                              ;   in Loop: Header=BB20_102 Depth=1
	s_lshl_b32 s10, s10, 2
	s_add_i32 s10, s10, 0
	s_mov_b32 s11, s8
.LBB20_108:                             ;   Parent Loop BB20_102 Depth=1
                                        ; =>  This Inner Loop Header: Depth=2
	v_mov_b32_e32 v4, s10
	ds_read_b32 v4, v4
	s_add_i32 s10, s10, 4
	s_add_i32 s11, s11, -1
	s_cmp_lg_u32 s11, 0
	s_waitcnt lgkmcnt(0)
	v_cmp_gt_i32_e32 vcc, v2, v4
	v_addc_co_u32_e32 v1, vcc, 0, v1, vcc
	s_cbranch_scc1 .LBB20_108
	s_branch .LBB20_101
.LBB20_109:
	s_endpgm
	.section	.rodata,"a",@progbits
	.p2align	6, 0x0
	.amdhsa_kernel _ZN9rocsparseL35csrgemm_symbolic_fill_block_per_rowILj1024ELj64ELj32768ELj137ELj32EiiEEvT5_PKS1_S3_PKT4_S3_S6_S3_S6_S3_S6_PS1_21rocsparse_index_base_S8_S8_S8_bb
		.amdhsa_group_segment_fixed_size 0
		.amdhsa_private_segment_fixed_size 0
		.amdhsa_kernarg_size 108
		.amdhsa_user_sgpr_count 6
		.amdhsa_user_sgpr_private_segment_buffer 1
		.amdhsa_user_sgpr_dispatch_ptr 0
		.amdhsa_user_sgpr_queue_ptr 0
		.amdhsa_user_sgpr_kernarg_segment_ptr 1
		.amdhsa_user_sgpr_dispatch_id 0
		.amdhsa_user_sgpr_flat_scratch_init 0
		.amdhsa_user_sgpr_private_segment_size 0
		.amdhsa_uses_dynamic_stack 0
		.amdhsa_system_sgpr_private_segment_wavefront_offset 0
		.amdhsa_system_sgpr_workgroup_id_x 1
		.amdhsa_system_sgpr_workgroup_id_y 0
		.amdhsa_system_sgpr_workgroup_id_z 0
		.amdhsa_system_sgpr_workgroup_info 0
		.amdhsa_system_vgpr_workitem_id 0
		.amdhsa_next_free_vgpr 14
		.amdhsa_next_free_sgpr 96
		.amdhsa_reserve_vcc 1
		.amdhsa_reserve_flat_scratch 0
		.amdhsa_float_round_mode_32 0
		.amdhsa_float_round_mode_16_64 0
		.amdhsa_float_denorm_mode_32 3
		.amdhsa_float_denorm_mode_16_64 3
		.amdhsa_dx10_clamp 1
		.amdhsa_ieee_mode 1
		.amdhsa_fp16_overflow 0
		.amdhsa_exception_fp_ieee_invalid_op 0
		.amdhsa_exception_fp_denorm_src 0
		.amdhsa_exception_fp_ieee_div_zero 0
		.amdhsa_exception_fp_ieee_overflow 0
		.amdhsa_exception_fp_ieee_underflow 0
		.amdhsa_exception_fp_ieee_inexact 0
		.amdhsa_exception_int_div_zero 0
	.end_amdhsa_kernel
	.section	.text._ZN9rocsparseL35csrgemm_symbolic_fill_block_per_rowILj1024ELj64ELj32768ELj137ELj32EiiEEvT5_PKS1_S3_PKT4_S3_S6_S3_S6_S3_S6_PS1_21rocsparse_index_base_S8_S8_S8_bb,"axG",@progbits,_ZN9rocsparseL35csrgemm_symbolic_fill_block_per_rowILj1024ELj64ELj32768ELj137ELj32EiiEEvT5_PKS1_S3_PKT4_S3_S6_S3_S6_S3_S6_PS1_21rocsparse_index_base_S8_S8_S8_bb,comdat
.Lfunc_end20:
	.size	_ZN9rocsparseL35csrgemm_symbolic_fill_block_per_rowILj1024ELj64ELj32768ELj137ELj32EiiEEvT5_PKS1_S3_PKT4_S3_S6_S3_S6_S3_S6_PS1_21rocsparse_index_base_S8_S8_S8_bb, .Lfunc_end20-_ZN9rocsparseL35csrgemm_symbolic_fill_block_per_rowILj1024ELj64ELj32768ELj137ELj32EiiEEvT5_PKS1_S3_PKT4_S3_S6_S3_S6_S3_S6_PS1_21rocsparse_index_base_S8_S8_S8_bb
                                        ; -- End function
	.set _ZN9rocsparseL35csrgemm_symbolic_fill_block_per_rowILj1024ELj64ELj32768ELj137ELj32EiiEEvT5_PKS1_S3_PKT4_S3_S6_S3_S6_S3_S6_PS1_21rocsparse_index_base_S8_S8_S8_bb.num_vgpr, 14
	.set _ZN9rocsparseL35csrgemm_symbolic_fill_block_per_rowILj1024ELj64ELj32768ELj137ELj32EiiEEvT5_PKS1_S3_PKT4_S3_S6_S3_S6_S3_S6_PS1_21rocsparse_index_base_S8_S8_S8_bb.num_agpr, 0
	.set _ZN9rocsparseL35csrgemm_symbolic_fill_block_per_rowILj1024ELj64ELj32768ELj137ELj32EiiEEvT5_PKS1_S3_PKT4_S3_S6_S3_S6_S3_S6_PS1_21rocsparse_index_base_S8_S8_S8_bb.numbered_sgpr, 96
	.set _ZN9rocsparseL35csrgemm_symbolic_fill_block_per_rowILj1024ELj64ELj32768ELj137ELj32EiiEEvT5_PKS1_S3_PKT4_S3_S6_S3_S6_S3_S6_PS1_21rocsparse_index_base_S8_S8_S8_bb.num_named_barrier, 0
	.set _ZN9rocsparseL35csrgemm_symbolic_fill_block_per_rowILj1024ELj64ELj32768ELj137ELj32EiiEEvT5_PKS1_S3_PKT4_S3_S6_S3_S6_S3_S6_PS1_21rocsparse_index_base_S8_S8_S8_bb.private_seg_size, 0
	.set _ZN9rocsparseL35csrgemm_symbolic_fill_block_per_rowILj1024ELj64ELj32768ELj137ELj32EiiEEvT5_PKS1_S3_PKT4_S3_S6_S3_S6_S3_S6_PS1_21rocsparse_index_base_S8_S8_S8_bb.uses_vcc, 1
	.set _ZN9rocsparseL35csrgemm_symbolic_fill_block_per_rowILj1024ELj64ELj32768ELj137ELj32EiiEEvT5_PKS1_S3_PKT4_S3_S6_S3_S6_S3_S6_PS1_21rocsparse_index_base_S8_S8_S8_bb.uses_flat_scratch, 0
	.set _ZN9rocsparseL35csrgemm_symbolic_fill_block_per_rowILj1024ELj64ELj32768ELj137ELj32EiiEEvT5_PKS1_S3_PKT4_S3_S6_S3_S6_S3_S6_PS1_21rocsparse_index_base_S8_S8_S8_bb.has_dyn_sized_stack, 0
	.set _ZN9rocsparseL35csrgemm_symbolic_fill_block_per_rowILj1024ELj64ELj32768ELj137ELj32EiiEEvT5_PKS1_S3_PKT4_S3_S6_S3_S6_S3_S6_PS1_21rocsparse_index_base_S8_S8_S8_bb.has_recursion, 0
	.set _ZN9rocsparseL35csrgemm_symbolic_fill_block_per_rowILj1024ELj64ELj32768ELj137ELj32EiiEEvT5_PKS1_S3_PKT4_S3_S6_S3_S6_S3_S6_PS1_21rocsparse_index_base_S8_S8_S8_bb.has_indirect_call, 0
	.section	.AMDGPU.csdata,"",@progbits
; Kernel info:
; codeLenInByte = 3992
; TotalNumSgprs: 100
; NumVgprs: 14
; ScratchSize: 0
; MemoryBound: 0
; FloatMode: 240
; IeeeMode: 1
; LDSByteSize: 0 bytes/workgroup (compile time only)
; SGPRBlocks: 12
; VGPRBlocks: 3
; NumSGPRsForWavesPerEU: 100
; NumVGPRsForWavesPerEU: 14
; Occupancy: 8
; WaveLimiterHint : 1
; COMPUTE_PGM_RSRC2:SCRATCH_EN: 0
; COMPUTE_PGM_RSRC2:USER_SGPR: 6
; COMPUTE_PGM_RSRC2:TRAP_HANDLER: 0
; COMPUTE_PGM_RSRC2:TGID_X_EN: 1
; COMPUTE_PGM_RSRC2:TGID_Y_EN: 0
; COMPUTE_PGM_RSRC2:TGID_Z_EN: 0
; COMPUTE_PGM_RSRC2:TIDIG_COMP_CNT: 0
	.section	.text._ZN9rocsparseL35csrgemm_symbolic_fill_block_per_rowILj1024ELj64ELj32768ELj137ELj64EiiEEvT5_PKS1_S3_PKT4_S3_S6_S3_S6_S3_S6_PS1_21rocsparse_index_base_S8_S8_S8_bb,"axG",@progbits,_ZN9rocsparseL35csrgemm_symbolic_fill_block_per_rowILj1024ELj64ELj32768ELj137ELj64EiiEEvT5_PKS1_S3_PKT4_S3_S6_S3_S6_S3_S6_PS1_21rocsparse_index_base_S8_S8_S8_bb,comdat
	.globl	_ZN9rocsparseL35csrgemm_symbolic_fill_block_per_rowILj1024ELj64ELj32768ELj137ELj64EiiEEvT5_PKS1_S3_PKT4_S3_S6_S3_S6_S3_S6_PS1_21rocsparse_index_base_S8_S8_S8_bb ; -- Begin function _ZN9rocsparseL35csrgemm_symbolic_fill_block_per_rowILj1024ELj64ELj32768ELj137ELj64EiiEEvT5_PKS1_S3_PKT4_S3_S6_S3_S6_S3_S6_PS1_21rocsparse_index_base_S8_S8_S8_bb
	.p2align	8
	.type	_ZN9rocsparseL35csrgemm_symbolic_fill_block_per_rowILj1024ELj64ELj32768ELj137ELj64EiiEEvT5_PKS1_S3_PKT4_S3_S6_S3_S6_S3_S6_PS1_21rocsparse_index_base_S8_S8_S8_bb,@function
_ZN9rocsparseL35csrgemm_symbolic_fill_block_per_rowILj1024ELj64ELj32768ELj137ELj64EiiEEvT5_PKS1_S3_PKT4_S3_S6_S3_S6_S3_S6_PS1_21rocsparse_index_base_S8_S8_S8_bb: ; @_ZN9rocsparseL35csrgemm_symbolic_fill_block_per_rowILj1024ELj64ELj32768ELj137ELj64EiiEEvT5_PKS1_S3_PKT4_S3_S6_S3_S6_S3_S6_PS1_21rocsparse_index_base_S8_S8_S8_bb
; %bb.0:
	s_load_dwordx4 s[36:39], s[4:5], 0x48
	s_load_dwordx8 s[8:15], s[4:5], 0x28
	s_load_dword s33, s[4:5], 0x0
	s_load_dwordx8 s[16:23], s[4:5], 0x8
	v_or_b32_e32 v4, 0xfffffc00, v0
	v_lshl_add_u32 v5, v0, 2, 0
	s_mov_b64 s[0:1], 0
	s_waitcnt lgkmcnt(0)
	v_mov_b32_e32 v1, s33
	s_movk_i32 s2, 0x7bff
	v_mov_b32_e32 v2, v5
	v_mov_b32_e32 v3, v4
.LBB21_1:                               ; =>This Inner Loop Header: Depth=1
	v_add_u32_e32 v3, 0x400, v3
	v_cmp_lt_u32_e32 vcc, s2, v3
	ds_write_b32 v2, v1
	s_or_b64 s[0:1], vcc, s[0:1]
	v_add_u32_e32 v2, 0x1000, v2
	s_andn2_b64 exec, exec, s[0:1]
	s_cbranch_execnz .LBB21_1
; %bb.2:
	s_or_b64 exec, exec, s[0:1]
	s_load_dword s28, s[4:5], 0x68
	s_waitcnt lgkmcnt(0)
	s_barrier
	s_load_dword s2, s[16:17], 0x0
	s_load_dwordx4 s[40:43], s[4:5], 0x58
	s_bitcmp1_b32 s28, 0
	s_cselect_b64 s[0:1], -1, 0
	s_mov_b32 s3, 0
	s_waitcnt lgkmcnt(0)
	s_add_i32 s2, s2, s6
	s_lshl_b64 s[2:3], s[2:3], 2
	s_add_u32 s2, s18, s2
	s_addc_u32 s3, s19, s3
	s_load_dword s34, s[2:3], 0x0
	v_lshrrev_b32_e32 v6, 6, v0
	s_and_b64 vcc, exec, s[0:1]
	s_cbranch_vccz .LBB21_18
; %bb.3:
	s_waitcnt lgkmcnt(0)
	s_ashr_i32 s35, s34, 31
	s_lshl_b64 s[0:1], s[34:35], 2
	s_add_u32 s0, s20, s0
	s_addc_u32 s1, s21, s1
	s_load_dwordx2 s[2:3], s[0:1], 0x0
	v_subrev_u32_e32 v1, s40, v6
	s_waitcnt lgkmcnt(0)
	s_sub_i32 s29, s3, s40
	v_add_u32_e32 v1, s2, v1
	v_cmp_gt_i32_e32 vcc, s29, v1
	s_and_saveexec_b64 s[0:1], vcc
	s_cbranch_execz .LBB21_17
; %bb.4:
	v_and_b32_e32 v2, 63, v0
	v_subrev_u32_e32 v7, s41, v2
	s_mov_b64 s[2:3], 0
	v_mov_b32_e32 v8, s23
	v_mov_b32_e32 v9, s9
	s_movk_i32 s9, 0x89
	s_branch .LBB21_6
.LBB21_5:                               ;   in Loop: Header=BB21_6 Depth=1
	s_or_b64 exec, exec, s[4:5]
	v_add_u32_e32 v1, 16, v1
	v_cmp_le_i32_e32 vcc, s29, v1
	s_or_b64 s[2:3], vcc, s[2:3]
	s_andn2_b64 exec, exec, s[2:3]
	s_cbranch_execz .LBB21_17
.LBB21_6:                               ; =>This Loop Header: Depth=1
                                        ;     Child Loop BB21_9 Depth 2
                                        ;       Child Loop BB21_12 Depth 3
	v_ashrrev_i32_e32 v2, 31, v1
	v_lshlrev_b64 v[2:3], 2, v[1:2]
	v_add_co_u32_e32 v2, vcc, s22, v2
	v_addc_co_u32_e32 v3, vcc, v8, v3, vcc
	global_load_dword v2, v[2:3], off
	s_waitcnt vmcnt(0)
	v_subrev_u32_e32 v2, s40, v2
	v_ashrrev_i32_e32 v3, 31, v2
	v_lshlrev_b64 v[2:3], 2, v[2:3]
	v_add_co_u32_e32 v2, vcc, s8, v2
	v_addc_co_u32_e32 v3, vcc, v9, v3, vcc
	global_load_dwordx2 v[2:3], v[2:3], off
	s_waitcnt vmcnt(0)
	v_subrev_u32_e32 v10, s41, v3
	v_add_u32_e32 v2, v2, v7
	v_cmp_lt_i32_e32 vcc, v2, v10
	s_and_saveexec_b64 s[4:5], vcc
	s_cbranch_execz .LBB21_5
; %bb.7:                                ;   in Loop: Header=BB21_6 Depth=1
	s_mov_b64 s[6:7], 0
	s_branch .LBB21_9
.LBB21_8:                               ;   in Loop: Header=BB21_9 Depth=2
	s_or_b64 exec, exec, s[16:17]
	v_add_u32_e32 v2, 64, v2
	v_cmp_ge_i32_e32 vcc, v2, v10
	s_or_b64 s[6:7], vcc, s[6:7]
	s_andn2_b64 exec, exec, s[6:7]
	s_cbranch_execz .LBB21_5
.LBB21_9:                               ;   Parent Loop BB21_6 Depth=1
                                        ; =>  This Loop Header: Depth=2
                                        ;       Child Loop BB21_12 Depth 3
	v_ashrrev_i32_e32 v3, 31, v2
	v_lshlrev_b64 v[11:12], 2, v[2:3]
	v_mov_b32_e32 v3, s11
	v_add_co_u32_e32 v11, vcc, s10, v11
	v_addc_co_u32_e32 v12, vcc, v3, v12, vcc
	global_load_dword v3, v[11:12], off
	s_mov_b64 s[16:17], 0
                                        ; implicit-def: $sgpr18_sgpr19
	s_waitcnt vmcnt(0)
	v_subrev_u32_e32 v3, s41, v3
	v_mul_lo_u32 v11, v3, s9
	v_and_b32_e32 v11, 0x7fff, v11
	s_branch .LBB21_12
.LBB21_10:                              ;   in Loop: Header=BB21_12 Depth=3
	s_or_b64 exec, exec, s[24:25]
	s_andn2_b64 s[18:19], s[18:19], exec
	s_and_b64 s[24:25], s[26:27], exec
	s_or_b64 s[18:19], s[18:19], s[24:25]
.LBB21_11:                              ;   in Loop: Header=BB21_12 Depth=3
	s_or_b64 exec, exec, s[20:21]
	s_xor_b64 s[20:21], s[18:19], -1
	s_and_b64 s[20:21], exec, s[20:21]
	s_or_b64 s[16:17], s[20:21], s[16:17]
	s_andn2_b64 exec, exec, s[16:17]
	s_cbranch_execz .LBB21_8
.LBB21_12:                              ;   Parent Loop BB21_6 Depth=1
                                        ;     Parent Loop BB21_9 Depth=2
                                        ; =>    This Inner Loop Header: Depth=3
	v_lshl_add_u32 v12, v11, 2, 0
	ds_read_b32 v13, v12
	s_andn2_b64 s[18:19], s[18:19], exec
	s_waitcnt lgkmcnt(0)
	v_cmp_ne_u32_e32 vcc, v13, v3
	s_and_saveexec_b64 s[20:21], vcc
	s_cbranch_execz .LBB21_11
; %bb.13:                               ;   in Loop: Header=BB21_12 Depth=3
	v_cmp_ne_u32_e32 vcc, s33, v13
	s_and_saveexec_b64 s[24:25], vcc
	s_xor_b64 s[24:25], exec, s[24:25]
; %bb.14:                               ;   in Loop: Header=BB21_12 Depth=3
	v_add_u32_e32 v11, 1, v11
	v_and_b32_e32 v11, 0x7fff, v11
                                        ; implicit-def: $vgpr12
; %bb.15:                               ;   in Loop: Header=BB21_12 Depth=3
	s_or_saveexec_b64 s[24:25], s[24:25]
	s_mov_b64 s[26:27], -1
	s_xor_b64 exec, exec, s[24:25]
	s_cbranch_execz .LBB21_10
; %bb.16:                               ;   in Loop: Header=BB21_12 Depth=3
	v_mov_b32_e32 v13, s33
	ds_cmpst_rtn_b32 v12, v12, v13, v3
	s_waitcnt lgkmcnt(0)
	v_cmp_ne_u32_e32 vcc, s33, v12
	s_orn2_b64 s[26:27], vcc, exec
	s_branch .LBB21_10
.LBB21_17:
	s_or_b64 exec, exec, s[0:1]
.LBB21_18:
	s_bfe_u32 s0, s28, 0x10008
	s_cmp_eq_u32 s0, 0
	s_cbranch_scc1 .LBB21_31
; %bb.19:
	s_waitcnt lgkmcnt(0)
	s_ashr_i32 s35, s34, 31
	s_lshl_b64 s[0:1], s[34:35], 2
	s_add_u32 s0, s12, s0
	s_addc_u32 s1, s13, s1
	s_load_dwordx2 s[2:3], s[0:1], 0x0
	v_subrev_u32_e32 v1, s43, v0
	s_waitcnt lgkmcnt(0)
	s_sub_i32 s16, s3, s43
	v_add_u32_e32 v1, s2, v1
	v_cmp_gt_i32_e32 vcc, s16, v1
	s_and_saveexec_b64 s[0:1], vcc
	s_cbranch_execz .LBB21_30
; %bb.20:
	s_mov_b64 s[2:3], 0
	v_mov_b32_e32 v3, s15
	s_movk_i32 s15, 0x89
	s_branch .LBB21_22
.LBB21_21:                              ;   in Loop: Header=BB21_22 Depth=1
	s_or_b64 exec, exec, s[4:5]
	v_add_u32_e32 v1, 0x400, v1
	v_cmp_le_i32_e32 vcc, s16, v1
	s_or_b64 s[2:3], vcc, s[2:3]
	s_andn2_b64 exec, exec, s[2:3]
	s_cbranch_execz .LBB21_30
.LBB21_22:                              ; =>This Loop Header: Depth=1
                                        ;     Child Loop BB21_25 Depth 2
	v_ashrrev_i32_e32 v2, 31, v1
	v_lshlrev_b64 v[7:8], 2, v[1:2]
	s_mov_b64 s[4:5], 0
	v_add_co_u32_e32 v7, vcc, s14, v7
	v_addc_co_u32_e32 v8, vcc, v3, v8, vcc
	global_load_dword v2, v[7:8], off
                                        ; implicit-def: $sgpr6_sgpr7
	s_waitcnt vmcnt(0)
	v_subrev_u32_e32 v2, s43, v2
	v_mul_lo_u32 v7, v2, s15
	v_and_b32_e32 v7, 0x7fff, v7
	s_branch .LBB21_25
.LBB21_23:                              ;   in Loop: Header=BB21_25 Depth=2
	s_or_b64 exec, exec, s[10:11]
	s_andn2_b64 s[6:7], s[6:7], exec
	s_and_b64 s[10:11], s[12:13], exec
	s_or_b64 s[6:7], s[6:7], s[10:11]
.LBB21_24:                              ;   in Loop: Header=BB21_25 Depth=2
	s_or_b64 exec, exec, s[8:9]
	s_xor_b64 s[8:9], s[6:7], -1
	s_and_b64 s[8:9], exec, s[8:9]
	s_or_b64 s[4:5], s[8:9], s[4:5]
	s_andn2_b64 exec, exec, s[4:5]
	s_cbranch_execz .LBB21_21
.LBB21_25:                              ;   Parent Loop BB21_22 Depth=1
                                        ; =>  This Inner Loop Header: Depth=2
	v_lshl_add_u32 v8, v7, 2, 0
	ds_read_b32 v9, v8
	s_andn2_b64 s[6:7], s[6:7], exec
	s_waitcnt lgkmcnt(0)
	v_cmp_ne_u32_e32 vcc, v9, v2
	s_and_saveexec_b64 s[8:9], vcc
	s_cbranch_execz .LBB21_24
; %bb.26:                               ;   in Loop: Header=BB21_25 Depth=2
	v_cmp_ne_u32_e32 vcc, s33, v9
	s_and_saveexec_b64 s[10:11], vcc
	s_xor_b64 s[10:11], exec, s[10:11]
; %bb.27:                               ;   in Loop: Header=BB21_25 Depth=2
	v_add_u32_e32 v7, 1, v7
	v_and_b32_e32 v7, 0x7fff, v7
                                        ; implicit-def: $vgpr8
; %bb.28:                               ;   in Loop: Header=BB21_25 Depth=2
	s_or_saveexec_b64 s[10:11], s[10:11]
	s_mov_b64 s[12:13], -1
	s_xor_b64 exec, exec, s[10:11]
	s_cbranch_execz .LBB21_23
; %bb.29:                               ;   in Loop: Header=BB21_25 Depth=2
	v_mov_b32_e32 v9, s33
	ds_cmpst_rtn_b32 v8, v8, v9, v2
	s_waitcnt lgkmcnt(0)
	v_cmp_ne_u32_e32 vcc, s33, v8
	s_orn2_b64 s[12:13], vcc, exec
	s_branch .LBB21_23
.LBB21_30:
	s_or_b64 exec, exec, s[0:1]
.LBB21_31:
	v_mbcnt_lo_u32_b32 v1, -1, 0
	v_mbcnt_hi_u32_b32 v1, -1, v1
	v_sub_u32_e32 v1, 63, v1
	v_lshrrev_b64 v[1:2], v1, -1
	s_add_i32 s35, 0, 0x20000
	s_movk_i32 s0, 0x3ff
	s_movk_i32 s2, 0x7f
	s_movk_i32 s4, 0xbf
	s_movk_i32 s6, 0xff
	s_movk_i32 s8, 0x13f
	s_movk_i32 s10, 0x17f
	s_movk_i32 s12, 0x1bf
	s_movk_i32 s14, 0x1ff
	s_movk_i32 s16, 0x23f
	s_movk_i32 s18, 0x27f
	s_movk_i32 s20, 0x2bf
	s_movk_i32 s22, 0x2ff
	s_movk_i32 s24, 0x33f
	s_movk_i32 s26, 0x37f
	s_movk_i32 s28, 0x3bf
	v_lshl_add_u32 v3, v6, 2, s35
	v_cmp_eq_u32_e32 vcc, s0, v0
	v_cmp_lt_u32_e64 s[0:1], 63, v0
	v_cmp_lt_u32_e64 s[2:3], s2, v0
	;; [unrolled: 1-line block ×15, first 2 shown]
	s_mov_b64 s[40:41], 0
	v_mov_b32_e32 v6, 0
	s_add_i32 s43, 0, 0x20004
	s_add_i32 s46, 0, 0x20008
	;; [unrolled: 1-line block ×15, first 2 shown]
	s_movk_i32 s60, 0x7bff
	s_waitcnt lgkmcnt(0)
	s_barrier
	s_branch .LBB21_33
.LBB21_32:                              ;   in Loop: Header=BB21_33 Depth=1
	s_or_b64 exec, exec, s[30:31]
	v_mov_b32_e32 v7, s59
	s_waitcnt lgkmcnt(0)
	s_barrier
	ds_read_b32 v7, v7
	v_add_u32_e32 v4, 0x400, v4
	v_cmp_lt_u32_e64 s[30:31], s60, v4
	s_or_b64 s[40:41], s[30:31], s[40:41]
	v_add_u32_e32 v5, 0x1000, v5
	s_waitcnt lgkmcnt(0)
	v_add_u32_e32 v6, v7, v6
	s_andn2_b64 exec, exec, s[40:41]
	s_cbranch_execz .LBB21_67
.LBB21_33:                              ; =>This Inner Loop Header: Depth=1
	ds_read_b32 v7, v5
	s_waitcnt lgkmcnt(0)
	s_barrier
	v_cmp_gt_i32_e64 s[30:31], s33, v7
	v_and_b32_e32 v9, s30, v1
	s_bcnt1_i32_b64 s44, s[30:31]
	v_and_b32_e32 v8, s31, v2
	v_bcnt_u32_b32 v9, v9, 0
	v_bcnt_u32_b32 v8, v8, v9
	v_mov_b32_e32 v9, s44
	ds_write_b32 v3, v9
	s_waitcnt lgkmcnt(0)
	s_barrier
	s_and_saveexec_b64 s[44:45], s[0:1]
	s_cbranch_execnz .LBB21_50
; %bb.34:                               ;   in Loop: Header=BB21_33 Depth=1
	s_or_b64 exec, exec, s[44:45]
	s_and_saveexec_b64 s[44:45], s[2:3]
	s_cbranch_execnz .LBB21_51
.LBB21_35:                              ;   in Loop: Header=BB21_33 Depth=1
	s_or_b64 exec, exec, s[44:45]
	s_and_saveexec_b64 s[44:45], s[4:5]
	s_cbranch_execnz .LBB21_52
.LBB21_36:                              ;   in Loop: Header=BB21_33 Depth=1
	s_or_b64 exec, exec, s[44:45]
	s_and_saveexec_b64 s[44:45], s[6:7]
	s_cbranch_execnz .LBB21_53
.LBB21_37:                              ;   in Loop: Header=BB21_33 Depth=1
	s_or_b64 exec, exec, s[44:45]
	s_and_saveexec_b64 s[44:45], s[8:9]
	s_cbranch_execnz .LBB21_54
.LBB21_38:                              ;   in Loop: Header=BB21_33 Depth=1
	s_or_b64 exec, exec, s[44:45]
	s_and_saveexec_b64 s[44:45], s[10:11]
	s_cbranch_execnz .LBB21_55
.LBB21_39:                              ;   in Loop: Header=BB21_33 Depth=1
	s_or_b64 exec, exec, s[44:45]
	s_and_saveexec_b64 s[44:45], s[12:13]
	s_cbranch_execnz .LBB21_56
.LBB21_40:                              ;   in Loop: Header=BB21_33 Depth=1
	s_or_b64 exec, exec, s[44:45]
	s_and_saveexec_b64 s[44:45], s[14:15]
	s_cbranch_execnz .LBB21_57
.LBB21_41:                              ;   in Loop: Header=BB21_33 Depth=1
	s_or_b64 exec, exec, s[44:45]
	s_and_saveexec_b64 s[44:45], s[16:17]
	s_cbranch_execnz .LBB21_58
.LBB21_42:                              ;   in Loop: Header=BB21_33 Depth=1
	s_or_b64 exec, exec, s[44:45]
	s_and_saveexec_b64 s[44:45], s[18:19]
	s_cbranch_execnz .LBB21_59
.LBB21_43:                              ;   in Loop: Header=BB21_33 Depth=1
	s_or_b64 exec, exec, s[44:45]
	s_and_saveexec_b64 s[44:45], s[20:21]
	s_cbranch_execnz .LBB21_60
.LBB21_44:                              ;   in Loop: Header=BB21_33 Depth=1
	s_or_b64 exec, exec, s[44:45]
	s_and_saveexec_b64 s[44:45], s[22:23]
	s_cbranch_execnz .LBB21_61
.LBB21_45:                              ;   in Loop: Header=BB21_33 Depth=1
	s_or_b64 exec, exec, s[44:45]
	s_and_saveexec_b64 s[44:45], s[24:25]
	s_cbranch_execnz .LBB21_62
.LBB21_46:                              ;   in Loop: Header=BB21_33 Depth=1
	s_or_b64 exec, exec, s[44:45]
	s_and_saveexec_b64 s[44:45], s[26:27]
	s_cbranch_execnz .LBB21_63
.LBB21_47:                              ;   in Loop: Header=BB21_33 Depth=1
	s_or_b64 exec, exec, s[44:45]
	s_and_saveexec_b64 s[44:45], s[28:29]
	s_cbranch_execnz .LBB21_64
.LBB21_48:                              ;   in Loop: Header=BB21_33 Depth=1
	s_or_b64 exec, exec, s[44:45]
	s_and_saveexec_b64 s[44:45], s[30:31]
	s_cbranch_execnz .LBB21_65
.LBB21_49:                              ;   in Loop: Header=BB21_33 Depth=1
	s_or_b64 exec, exec, s[44:45]
	s_and_saveexec_b64 s[30:31], vcc
	s_cbranch_execz .LBB21_32
	s_branch .LBB21_66
.LBB21_50:                              ;   in Loop: Header=BB21_33 Depth=1
	v_mov_b32_e32 v9, s35
	ds_read_b32 v9, v9
	s_waitcnt lgkmcnt(0)
	v_add_u32_e32 v8, v9, v8
	s_or_b64 exec, exec, s[44:45]
	s_and_saveexec_b64 s[44:45], s[2:3]
	s_cbranch_execz .LBB21_35
.LBB21_51:                              ;   in Loop: Header=BB21_33 Depth=1
	v_mov_b32_e32 v9, s43
	ds_read_b32 v9, v9
	s_waitcnt lgkmcnt(0)
	v_add_u32_e32 v8, v9, v8
	s_or_b64 exec, exec, s[44:45]
	s_and_saveexec_b64 s[44:45], s[4:5]
	s_cbranch_execz .LBB21_36
.LBB21_52:                              ;   in Loop: Header=BB21_33 Depth=1
	v_mov_b32_e32 v9, s46
	ds_read_b32 v9, v9
	s_waitcnt lgkmcnt(0)
	v_add_u32_e32 v8, v9, v8
	s_or_b64 exec, exec, s[44:45]
	s_and_saveexec_b64 s[44:45], s[6:7]
	s_cbranch_execz .LBB21_37
.LBB21_53:                              ;   in Loop: Header=BB21_33 Depth=1
	v_mov_b32_e32 v9, s47
	ds_read_b32 v9, v9
	s_waitcnt lgkmcnt(0)
	v_add_u32_e32 v8, v9, v8
	s_or_b64 exec, exec, s[44:45]
	s_and_saveexec_b64 s[44:45], s[8:9]
	s_cbranch_execz .LBB21_38
.LBB21_54:                              ;   in Loop: Header=BB21_33 Depth=1
	v_mov_b32_e32 v9, s48
	ds_read_b32 v9, v9
	s_waitcnt lgkmcnt(0)
	v_add_u32_e32 v8, v9, v8
	s_or_b64 exec, exec, s[44:45]
	s_and_saveexec_b64 s[44:45], s[10:11]
	s_cbranch_execz .LBB21_39
.LBB21_55:                              ;   in Loop: Header=BB21_33 Depth=1
	v_mov_b32_e32 v9, s49
	ds_read_b32 v9, v9
	s_waitcnt lgkmcnt(0)
	v_add_u32_e32 v8, v9, v8
	s_or_b64 exec, exec, s[44:45]
	s_and_saveexec_b64 s[44:45], s[12:13]
	s_cbranch_execz .LBB21_40
.LBB21_56:                              ;   in Loop: Header=BB21_33 Depth=1
	v_mov_b32_e32 v9, s50
	ds_read_b32 v9, v9
	s_waitcnt lgkmcnt(0)
	v_add_u32_e32 v8, v9, v8
	s_or_b64 exec, exec, s[44:45]
	s_and_saveexec_b64 s[44:45], s[14:15]
	s_cbranch_execz .LBB21_41
.LBB21_57:                              ;   in Loop: Header=BB21_33 Depth=1
	v_mov_b32_e32 v9, s51
	ds_read_b32 v9, v9
	s_waitcnt lgkmcnt(0)
	v_add_u32_e32 v8, v9, v8
	s_or_b64 exec, exec, s[44:45]
	s_and_saveexec_b64 s[44:45], s[16:17]
	s_cbranch_execz .LBB21_42
.LBB21_58:                              ;   in Loop: Header=BB21_33 Depth=1
	v_mov_b32_e32 v9, s52
	ds_read_b32 v9, v9
	s_waitcnt lgkmcnt(0)
	v_add_u32_e32 v8, v9, v8
	s_or_b64 exec, exec, s[44:45]
	s_and_saveexec_b64 s[44:45], s[18:19]
	s_cbranch_execz .LBB21_43
.LBB21_59:                              ;   in Loop: Header=BB21_33 Depth=1
	v_mov_b32_e32 v9, s53
	ds_read_b32 v9, v9
	s_waitcnt lgkmcnt(0)
	v_add_u32_e32 v8, v9, v8
	s_or_b64 exec, exec, s[44:45]
	s_and_saveexec_b64 s[44:45], s[20:21]
	s_cbranch_execz .LBB21_44
.LBB21_60:                              ;   in Loop: Header=BB21_33 Depth=1
	v_mov_b32_e32 v9, s54
	ds_read_b32 v9, v9
	s_waitcnt lgkmcnt(0)
	v_add_u32_e32 v8, v9, v8
	s_or_b64 exec, exec, s[44:45]
	s_and_saveexec_b64 s[44:45], s[22:23]
	s_cbranch_execz .LBB21_45
.LBB21_61:                              ;   in Loop: Header=BB21_33 Depth=1
	v_mov_b32_e32 v9, s55
	ds_read_b32 v9, v9
	s_waitcnt lgkmcnt(0)
	v_add_u32_e32 v8, v9, v8
	s_or_b64 exec, exec, s[44:45]
	s_and_saveexec_b64 s[44:45], s[24:25]
	s_cbranch_execz .LBB21_46
.LBB21_62:                              ;   in Loop: Header=BB21_33 Depth=1
	v_mov_b32_e32 v9, s56
	ds_read_b32 v9, v9
	s_waitcnt lgkmcnt(0)
	v_add_u32_e32 v8, v9, v8
	s_or_b64 exec, exec, s[44:45]
	s_and_saveexec_b64 s[44:45], s[26:27]
	s_cbranch_execz .LBB21_47
.LBB21_63:                              ;   in Loop: Header=BB21_33 Depth=1
	v_mov_b32_e32 v9, s57
	ds_read_b32 v9, v9
	s_waitcnt lgkmcnt(0)
	v_add_u32_e32 v8, v9, v8
	s_or_b64 exec, exec, s[44:45]
	s_and_saveexec_b64 s[44:45], s[28:29]
	s_cbranch_execz .LBB21_48
.LBB21_64:                              ;   in Loop: Header=BB21_33 Depth=1
	v_mov_b32_e32 v9, s58
	ds_read_b32 v9, v9
	s_waitcnt lgkmcnt(0)
	v_add_u32_e32 v8, v9, v8
	s_or_b64 exec, exec, s[44:45]
	s_and_saveexec_b64 s[44:45], s[30:31]
	s_cbranch_execz .LBB21_49
.LBB21_65:                              ;   in Loop: Header=BB21_33 Depth=1
	v_lshlrev_b32_e32 v9, 2, v6
	v_add_u32_e32 v9, 0, v9
	v_lshlrev_b32_e32 v10, 2, v8
	v_add3_u32 v9, v9, v10, -4
	ds_write_b32 v9, v7
	s_or_b64 exec, exec, s[44:45]
	s_and_saveexec_b64 s[30:31], vcc
	s_cbranch_execz .LBB21_32
.LBB21_66:                              ;   in Loop: Header=BB21_33 Depth=1
	v_mov_b32_e32 v7, s59
	ds_write_b32 v7, v8
	s_branch .LBB21_32
.LBB21_67:
	s_or_b64 exec, exec, s[40:41]
	s_ashr_i32 s35, s34, 31
	s_lshl_b64 s[0:1], s[34:35], 2
	s_add_u32 s2, s36, s0
	s_addc_u32 s3, s37, s1
	s_load_dwordx2 s[0:1], s[2:3], 0x0
	s_waitcnt lgkmcnt(0)
	s_sub_i32 s6, s1, s0
	v_cmp_gt_i32_e32 vcc, s6, v0
	s_and_saveexec_b64 s[2:3], vcc
	s_cbranch_execz .LBB21_77
; %bb.68:
	s_sub_i32 s7, s0, s42
	s_and_b32 s8, s6, 7
	s_sub_i32 s0, s0, s1
	s_cmp_lt_u32 s0, -7
	s_cselect_b64 s[0:1], -1, 0
	s_and_b32 s9, s6, -8
	s_cmp_lg_u32 s8, 0
	v_cndmask_b32_e64 v1, 0, 1, s[0:1]
	s_cselect_b64 s[2:3], -1, 0
	v_cmp_ne_u32_e64 s[0:1], 1, v1
	v_cndmask_b32_e64 v1, 0, 1, s[2:3]
	s_mov_b64 s[4:5], 0
	v_cmp_ne_u32_e64 s[2:3], 1, v1
	v_mov_b32_e32 v3, s39
	s_branch .LBB21_70
.LBB21_69:                              ;   in Loop: Header=BB21_70 Depth=1
	s_waitcnt lgkmcnt(0)
	v_add_u32_e32 v4, s42, v2
	v_ashrrev_i32_e32 v2, 31, v1
	v_lshlrev_b64 v[1:2], 2, v[1:2]
	v_add_u32_e32 v0, 0x400, v0
	v_add_co_u32_e32 v1, vcc, s38, v1
	v_addc_co_u32_e32 v2, vcc, v3, v2, vcc
	v_cmp_le_i32_e32 vcc, s6, v0
	s_or_b64 s[4:5], vcc, s[4:5]
	global_store_dword v[1:2], v4, off
	s_andn2_b64 exec, exec, s[4:5]
	s_cbranch_execz .LBB21_77
.LBB21_70:                              ; =>This Loop Header: Depth=1
                                        ;     Child Loop BB21_72 Depth 2
                                        ;     Child Loop BB21_76 Depth 2
	v_lshl_add_u32 v1, v0, 2, 0
	ds_read_b32 v2, v1
	s_and_b64 vcc, exec, s[0:1]
	v_mov_b32_e32 v1, s7
	s_mov_b32 s10, 0
	s_cbranch_vccnz .LBB21_74
; %bb.71:                               ;   in Loop: Header=BB21_70 Depth=1
	s_mov_b32 s11, 0
	v_mov_b32_e32 v1, s7
.LBB21_72:                              ;   Parent Loop BB21_70 Depth=1
                                        ; =>  This Inner Loop Header: Depth=2
	v_mov_b32_e32 v10, s11
	ds_read2_b32 v[4:5], v10 offset1:1
	ds_read2_b32 v[6:7], v10 offset0:2 offset1:3
	ds_read2_b32 v[8:9], v10 offset0:4 offset1:5
	;; [unrolled: 1-line block ×3, first 2 shown]
	s_add_i32 s10, s10, 8
	s_waitcnt lgkmcnt(3)
	v_cmp_gt_i32_e32 vcc, v2, v4
	v_cndmask_b32_e64 v4, 0, 1, vcc
	s_waitcnt lgkmcnt(2)
	v_cmp_gt_i32_e32 vcc, v2, v6
	v_cndmask_b32_e64 v6, 0, 1, vcc
	;; [unrolled: 3-line block ×4, first 2 shown]
	v_cmp_gt_i32_e32 vcc, v2, v5
	v_addc_co_u32_e32 v1, vcc, v1, v4, vcc
	v_cmp_gt_i32_e32 vcc, v2, v7
	v_addc_co_u32_e32 v1, vcc, v1, v6, vcc
	v_cmp_gt_i32_e32 vcc, v2, v9
	v_addc_co_u32_e32 v1, vcc, v1, v8, vcc
	s_add_i32 s11, s11, 32
	v_cmp_gt_i32_e32 vcc, v2, v11
	s_cmp_eq_u32 s9, s10
	v_addc_co_u32_e32 v1, vcc, v1, v10, vcc
	s_cbranch_scc0 .LBB21_72
; %bb.73:                               ;   in Loop: Header=BB21_70 Depth=1
	s_mov_b32 s10, s9
.LBB21_74:                              ;   in Loop: Header=BB21_70 Depth=1
	s_and_b64 vcc, exec, s[2:3]
	s_cbranch_vccnz .LBB21_69
; %bb.75:                               ;   in Loop: Header=BB21_70 Depth=1
	s_lshl_b32 s10, s10, 2
	s_add_i32 s10, s10, 0
	s_mov_b32 s11, s8
.LBB21_76:                              ;   Parent Loop BB21_70 Depth=1
                                        ; =>  This Inner Loop Header: Depth=2
	v_mov_b32_e32 v4, s10
	ds_read_b32 v4, v4
	s_add_i32 s10, s10, 4
	s_add_i32 s11, s11, -1
	s_cmp_lg_u32 s11, 0
	s_waitcnt lgkmcnt(0)
	v_cmp_gt_i32_e32 vcc, v2, v4
	v_addc_co_u32_e32 v1, vcc, 0, v1, vcc
	s_cbranch_scc1 .LBB21_76
	s_branch .LBB21_69
.LBB21_77:
	s_endpgm
	.section	.rodata,"a",@progbits
	.p2align	6, 0x0
	.amdhsa_kernel _ZN9rocsparseL35csrgemm_symbolic_fill_block_per_rowILj1024ELj64ELj32768ELj137ELj64EiiEEvT5_PKS1_S3_PKT4_S3_S6_S3_S6_S3_S6_PS1_21rocsparse_index_base_S8_S8_S8_bb
		.amdhsa_group_segment_fixed_size 0
		.amdhsa_private_segment_fixed_size 0
		.amdhsa_kernarg_size 108
		.amdhsa_user_sgpr_count 6
		.amdhsa_user_sgpr_private_segment_buffer 1
		.amdhsa_user_sgpr_dispatch_ptr 0
		.amdhsa_user_sgpr_queue_ptr 0
		.amdhsa_user_sgpr_kernarg_segment_ptr 1
		.amdhsa_user_sgpr_dispatch_id 0
		.amdhsa_user_sgpr_flat_scratch_init 0
		.amdhsa_user_sgpr_private_segment_size 0
		.amdhsa_uses_dynamic_stack 0
		.amdhsa_system_sgpr_private_segment_wavefront_offset 0
		.amdhsa_system_sgpr_workgroup_id_x 1
		.amdhsa_system_sgpr_workgroup_id_y 0
		.amdhsa_system_sgpr_workgroup_id_z 0
		.amdhsa_system_sgpr_workgroup_info 0
		.amdhsa_system_vgpr_workitem_id 0
		.amdhsa_next_free_vgpr 14
		.amdhsa_next_free_sgpr 61
		.amdhsa_reserve_vcc 1
		.amdhsa_reserve_flat_scratch 0
		.amdhsa_float_round_mode_32 0
		.amdhsa_float_round_mode_16_64 0
		.amdhsa_float_denorm_mode_32 3
		.amdhsa_float_denorm_mode_16_64 3
		.amdhsa_dx10_clamp 1
		.amdhsa_ieee_mode 1
		.amdhsa_fp16_overflow 0
		.amdhsa_exception_fp_ieee_invalid_op 0
		.amdhsa_exception_fp_denorm_src 0
		.amdhsa_exception_fp_ieee_div_zero 0
		.amdhsa_exception_fp_ieee_overflow 0
		.amdhsa_exception_fp_ieee_underflow 0
		.amdhsa_exception_fp_ieee_inexact 0
		.amdhsa_exception_int_div_zero 0
	.end_amdhsa_kernel
	.section	.text._ZN9rocsparseL35csrgemm_symbolic_fill_block_per_rowILj1024ELj64ELj32768ELj137ELj64EiiEEvT5_PKS1_S3_PKT4_S3_S6_S3_S6_S3_S6_PS1_21rocsparse_index_base_S8_S8_S8_bb,"axG",@progbits,_ZN9rocsparseL35csrgemm_symbolic_fill_block_per_rowILj1024ELj64ELj32768ELj137ELj64EiiEEvT5_PKS1_S3_PKT4_S3_S6_S3_S6_S3_S6_PS1_21rocsparse_index_base_S8_S8_S8_bb,comdat
.Lfunc_end21:
	.size	_ZN9rocsparseL35csrgemm_symbolic_fill_block_per_rowILj1024ELj64ELj32768ELj137ELj64EiiEEvT5_PKS1_S3_PKT4_S3_S6_S3_S6_S3_S6_PS1_21rocsparse_index_base_S8_S8_S8_bb, .Lfunc_end21-_ZN9rocsparseL35csrgemm_symbolic_fill_block_per_rowILj1024ELj64ELj32768ELj137ELj64EiiEEvT5_PKS1_S3_PKT4_S3_S6_S3_S6_S3_S6_PS1_21rocsparse_index_base_S8_S8_S8_bb
                                        ; -- End function
	.set _ZN9rocsparseL35csrgemm_symbolic_fill_block_per_rowILj1024ELj64ELj32768ELj137ELj64EiiEEvT5_PKS1_S3_PKT4_S3_S6_S3_S6_S3_S6_PS1_21rocsparse_index_base_S8_S8_S8_bb.num_vgpr, 14
	.set _ZN9rocsparseL35csrgemm_symbolic_fill_block_per_rowILj1024ELj64ELj32768ELj137ELj64EiiEEvT5_PKS1_S3_PKT4_S3_S6_S3_S6_S3_S6_PS1_21rocsparse_index_base_S8_S8_S8_bb.num_agpr, 0
	.set _ZN9rocsparseL35csrgemm_symbolic_fill_block_per_rowILj1024ELj64ELj32768ELj137ELj64EiiEEvT5_PKS1_S3_PKT4_S3_S6_S3_S6_S3_S6_PS1_21rocsparse_index_base_S8_S8_S8_bb.numbered_sgpr, 61
	.set _ZN9rocsparseL35csrgemm_symbolic_fill_block_per_rowILj1024ELj64ELj32768ELj137ELj64EiiEEvT5_PKS1_S3_PKT4_S3_S6_S3_S6_S3_S6_PS1_21rocsparse_index_base_S8_S8_S8_bb.num_named_barrier, 0
	.set _ZN9rocsparseL35csrgemm_symbolic_fill_block_per_rowILj1024ELj64ELj32768ELj137ELj64EiiEEvT5_PKS1_S3_PKT4_S3_S6_S3_S6_S3_S6_PS1_21rocsparse_index_base_S8_S8_S8_bb.private_seg_size, 0
	.set _ZN9rocsparseL35csrgemm_symbolic_fill_block_per_rowILj1024ELj64ELj32768ELj137ELj64EiiEEvT5_PKS1_S3_PKT4_S3_S6_S3_S6_S3_S6_PS1_21rocsparse_index_base_S8_S8_S8_bb.uses_vcc, 1
	.set _ZN9rocsparseL35csrgemm_symbolic_fill_block_per_rowILj1024ELj64ELj32768ELj137ELj64EiiEEvT5_PKS1_S3_PKT4_S3_S6_S3_S6_S3_S6_PS1_21rocsparse_index_base_S8_S8_S8_bb.uses_flat_scratch, 0
	.set _ZN9rocsparseL35csrgemm_symbolic_fill_block_per_rowILj1024ELj64ELj32768ELj137ELj64EiiEEvT5_PKS1_S3_PKT4_S3_S6_S3_S6_S3_S6_PS1_21rocsparse_index_base_S8_S8_S8_bb.has_dyn_sized_stack, 0
	.set _ZN9rocsparseL35csrgemm_symbolic_fill_block_per_rowILj1024ELj64ELj32768ELj137ELj64EiiEEvT5_PKS1_S3_PKT4_S3_S6_S3_S6_S3_S6_PS1_21rocsparse_index_base_S8_S8_S8_bb.has_recursion, 0
	.set _ZN9rocsparseL35csrgemm_symbolic_fill_block_per_rowILj1024ELj64ELj32768ELj137ELj64EiiEEvT5_PKS1_S3_PKT4_S3_S6_S3_S6_S3_S6_PS1_21rocsparse_index_base_S8_S8_S8_bb.has_indirect_call, 0
	.section	.AMDGPU.csdata,"",@progbits
; Kernel info:
; codeLenInByte = 2660
; TotalNumSgprs: 65
; NumVgprs: 14
; ScratchSize: 0
; MemoryBound: 0
; FloatMode: 240
; IeeeMode: 1
; LDSByteSize: 0 bytes/workgroup (compile time only)
; SGPRBlocks: 8
; VGPRBlocks: 3
; NumSGPRsForWavesPerEU: 65
; NumVGPRsForWavesPerEU: 14
; Occupancy: 10
; WaveLimiterHint : 1
; COMPUTE_PGM_RSRC2:SCRATCH_EN: 0
; COMPUTE_PGM_RSRC2:USER_SGPR: 6
; COMPUTE_PGM_RSRC2:TRAP_HANDLER: 0
; COMPUTE_PGM_RSRC2:TGID_X_EN: 1
; COMPUTE_PGM_RSRC2:TGID_Y_EN: 0
; COMPUTE_PGM_RSRC2:TGID_Z_EN: 0
; COMPUTE_PGM_RSRC2:TIDIG_COMP_CNT: 0
	.section	.text._ZN9rocsparseL45csrgemm_symbolic_fill_block_per_row_multipassILj512ELj16ELj2048ELj32EiiEEvT4_PKS1_S3_PKT3_S3_S6_S3_S6_S3_S6_PS1_PS4_21rocsparse_index_base_S9_S9_S9_bb,"axG",@progbits,_ZN9rocsparseL45csrgemm_symbolic_fill_block_per_row_multipassILj512ELj16ELj2048ELj32EiiEEvT4_PKS1_S3_PKT3_S3_S6_S3_S6_S3_S6_PS1_PS4_21rocsparse_index_base_S9_S9_S9_bb,comdat
	.globl	_ZN9rocsparseL45csrgemm_symbolic_fill_block_per_row_multipassILj512ELj16ELj2048ELj32EiiEEvT4_PKS1_S3_PKT3_S3_S6_S3_S6_S3_S6_PS1_PS4_21rocsparse_index_base_S9_S9_S9_bb ; -- Begin function _ZN9rocsparseL45csrgemm_symbolic_fill_block_per_row_multipassILj512ELj16ELj2048ELj32EiiEEvT4_PKS1_S3_PKT3_S3_S6_S3_S6_S3_S6_PS1_PS4_21rocsparse_index_base_S9_S9_S9_bb
	.p2align	8
	.type	_ZN9rocsparseL45csrgemm_symbolic_fill_block_per_row_multipassILj512ELj16ELj2048ELj32EiiEEvT4_PKS1_S3_PKT3_S3_S6_S3_S6_S3_S6_PS1_PS4_21rocsparse_index_base_S9_S9_S9_bb,@function
_ZN9rocsparseL45csrgemm_symbolic_fill_block_per_row_multipassILj512ELj16ELj2048ELj32EiiEEvT4_PKS1_S3_PKT3_S3_S6_S3_S6_S3_S6_PS1_PS4_21rocsparse_index_base_S9_S9_S9_bb: ; @_ZN9rocsparseL45csrgemm_symbolic_fill_block_per_row_multipassILj512ELj16ELj2048ELj32EiiEEvT4_PKS1_S3_PKT3_S3_S6_S3_S6_S3_S6_PS1_PS4_21rocsparse_index_base_S9_S9_S9_bb
; %bb.0:
	s_load_dwordx4 s[8:11], s[4:5], 0x8
	s_load_dword s7, s[4:5], 0x70
	s_load_dwordx2 s[2:3], s[4:5], 0x18
	s_mov_b32 s43, 0
	s_waitcnt lgkmcnt(0)
	s_load_dword s0, s[8:9], 0x0
	s_load_dwordx4 s[60:63], s[4:5], 0x60
	s_bitcmp1_b32 s7, 0
	s_cselect_b64 s[8:9], -1, 0
	s_waitcnt lgkmcnt(0)
	s_add_i32 s42, s0, s6
	s_lshl_b64 s[0:1], s[42:43], 2
	s_add_u32 s0, s10, s0
	s_addc_u32 s1, s11, s1
	s_load_dword s0, s[0:1], 0x0
	s_bitcmp0_b32 s7, 0
	s_mov_b32 s6, 0
	s_cbranch_scc0 .LBB22_3
; %bb.1:
	s_andn2_b64 vcc, exec, s[8:9]
	s_cbranch_vccz .LBB22_4
.LBB22_2:
	s_load_dword s33, s[4:5], 0x0
	s_waitcnt lgkmcnt(0)
	s_cmp_lt_i32 s33, 1
	s_cbranch_scc0 .LBB22_5
	s_branch .LBB22_64
.LBB22_3:
	s_waitcnt lgkmcnt(0)
	s_ashr_i32 s1, s0, 31
	s_lshl_b64 s[10:11], s[0:1], 2
	s_add_u32 s10, s2, s10
	s_addc_u32 s11, s3, s11
	s_load_dword s1, s[10:11], 0x0
	s_waitcnt lgkmcnt(0)
	s_sub_i32 s6, s1, s60
	s_andn2_b64 vcc, exec, s[8:9]
	s_cbranch_vccnz .LBB22_2
.LBB22_4:
	s_waitcnt lgkmcnt(0)
	s_ashr_i32 s1, s0, 31
	s_lshl_b64 s[10:11], s[0:1], 2
	s_add_u32 s2, s2, s10
	s_addc_u32 s3, s3, s11
	s_load_dword s1, s[2:3], 0x4
	s_waitcnt lgkmcnt(0)
	s_sub_i32 s43, s1, s60
	s_load_dword s33, s[4:5], 0x0
	s_waitcnt lgkmcnt(0)
	s_cmp_lt_i32 s33, 1
	s_cbranch_scc1 .LBB22_64
.LBB22_5:
	s_load_dwordx8 s[44:51], s[4:5], 0x40
	s_bitcmp1_b32 s7, 8
	s_cselect_b64 s[64:65], -1, 0
	s_ashr_i32 s1, s0, 31
	s_lshl_b64 s[10:11], s[0:1], 2
	s_waitcnt lgkmcnt(0)
	s_add_u32 s0, s46, s10
	s_addc_u32 s1, s47, s11
	s_load_dword s2, s[0:1], 0x0
	s_load_dwordx8 s[52:59], s[4:5], 0x20
	v_lshrrev_b32_e32 v1, 4, v0
	v_add_u32_e32 v9, s6, v1
	v_mbcnt_lo_u32_b32 v1, -1, 0
	s_waitcnt lgkmcnt(0)
	s_sub_i32 s34, s2, s62
	v_mbcnt_hi_u32_b32 v1, -1, v1
	v_cmp_gt_i32_e32 vcc, s43, v9
	s_add_u32 s46, s58, s10
	v_sub_u32_e32 v1, 63, v1
	v_and_b32_e32 v8, 15, v0
	s_addc_u32 s47, s59, s11
	v_lshrrev_b64 v[1:2], v1, -1
	v_lshrrev_b32_e32 v3, 3, v0
	s_movk_i32 s4, 0x1ff
	s_and_b64 s[58:59], s[8:9], vcc
	s_movk_i32 s8, 0x60
	s_movk_i32 s10, 0x80
	;; [unrolled: 1-line block ×13, first 2 shown]
	v_cmp_eq_u32_e64 s[0:1], 0, v0
	v_cmp_eq_u32_e64 s[2:3], 15, v8
	v_subrev_u32_e32 v10, s63, v0
	v_and_b32_e32 v11, 60, v3
	v_cmp_eq_u32_e64 s[4:5], s4, v0
	v_cmp_gt_u32_e64 s[6:7], 32, v0
	v_cmp_gt_u32_e64 s[8:9], s8, v0
	;; [unrolled: 1-line block ×13, first 2 shown]
	v_mov_b32_e32 v12, s34
	v_cmp_gt_u32_e64 s[34:35], s35, v0
	v_mov_b32_e32 v13, 0
	v_mov_b32_e32 v16, 0x800
	v_mov_b32_e32 v14, 1
	v_mov_b32_e32 v15, 0
	s_movk_i32 s42, 0x5ff
	v_cmp_gt_u32_e64 s[36:37], 64, v0
	s_mov_b64 s[66:67], -1
	s_branch .LBB22_7
.LBB22_6:                               ;   in Loop: Header=BB22_7 Depth=1
	s_or_b64 exec, exec, s[38:39]
	ds_read_b32 v15, v13 offset:10240
	s_waitcnt lgkmcnt(0)
	s_barrier
	v_cmp_le_i32_e32 vcc, s33, v15
	v_add_u32_e32 v16, 0x800, v15
	s_cbranch_vccnz .LBB22_64
.LBB22_7:                               ; =>This Loop Header: Depth=1
                                        ;     Child Loop BB22_16 Depth 2
                                        ;       Child Loop BB22_22 Depth 3
                                        ;     Child Loop BB22_43 Depth 2
                                        ;     Child Loop BB22_55 Depth 2
	;; [unrolled: 1-line block ×3, first 2 shown]
	s_and_saveexec_b64 s[38:39], s[66:67]
	s_cbranch_execnz .LBB22_34
; %bb.8:                                ;   in Loop: Header=BB22_7 Depth=1
	s_or_b64 exec, exec, s[38:39]
	s_and_saveexec_b64 s[38:39], s[66:67]
	s_cbranch_execnz .LBB22_35
.LBB22_9:                               ;   in Loop: Header=BB22_7 Depth=1
	s_or_b64 exec, exec, s[38:39]
	s_and_saveexec_b64 s[38:39], s[66:67]
	s_cbranch_execnz .LBB22_36
.LBB22_10:                              ;   in Loop: Header=BB22_7 Depth=1
	s_or_b64 exec, exec, s[38:39]
	s_and_saveexec_b64 s[38:39], s[66:67]
	s_cbranch_execnz .LBB22_37
.LBB22_11:                              ;   in Loop: Header=BB22_7 Depth=1
	s_or_b64 exec, exec, s[38:39]
	s_and_saveexec_b64 s[38:39], s[0:1]
.LBB22_12:                              ;   in Loop: Header=BB22_7 Depth=1
	v_mov_b32_e32 v3, s33
	ds_write_b32 v13, v3 offset:10240
.LBB22_13:                              ;   in Loop: Header=BB22_7 Depth=1
	s_or_b64 exec, exec, s[38:39]
	v_mov_b32_e32 v17, s33
	s_waitcnt lgkmcnt(0)
	s_barrier
	s_and_saveexec_b64 s[68:69], s[58:59]
	s_cbranch_execz .LBB22_39
; %bb.14:                               ;   in Loop: Header=BB22_7 Depth=1
	s_mov_b64 s[70:71], 0
	v_cmp_ne_u32_e64 s[38:39], 0, v15
	v_mov_b32_e32 v17, s33
	v_mov_b32_e32 v3, v9
	s_branch .LBB22_16
.LBB22_15:                              ;   in Loop: Header=BB22_16 Depth=2
	s_or_b64 exec, exec, s[40:41]
	v_add_u32_e32 v3, 32, v3
	v_cmp_le_i32_e32 vcc, s43, v3
	s_or_b64 s[70:71], vcc, s[70:71]
	s_andn2_b64 exec, exec, s[70:71]
	s_cbranch_execz .LBB22_38
.LBB22_16:                              ;   Parent Loop BB22_7 Depth=1
                                        ; =>  This Loop Header: Depth=2
                                        ;       Child Loop BB22_22 Depth 3
	v_ashrrev_i32_e32 v4, 31, v3
	v_lshlrev_b64 v[4:5], 2, v[3:4]
	v_mov_b32_e32 v7, s53
	v_add_co_u32_e32 v6, vcc, s52, v4
	v_addc_co_u32_e32 v7, vcc, v7, v5, vcc
	global_load_dword v6, v[6:7], off
	s_and_b64 vcc, exec, s[38:39]
	s_waitcnt vmcnt(0)
	v_subrev_u32_e32 v6, s60, v6
	v_ashrrev_i32_e32 v7, 31, v6
	s_cbranch_vccz .LBB22_33
; %bb.17:                               ;   in Loop: Header=BB22_16 Depth=2
	v_mov_b32_e32 v19, s51
	v_add_co_u32_e32 v18, vcc, s50, v4
	v_addc_co_u32_e32 v19, vcc, v19, v5, vcc
	global_load_dword v18, v[18:19], off
	s_cbranch_execnz .LBB22_19
.LBB22_18:                              ;   in Loop: Header=BB22_16 Depth=2
	s_waitcnt vmcnt(0)
	v_lshlrev_b64 v[18:19], 2, v[6:7]
	v_mov_b32_e32 v20, s55
	v_add_co_u32_e32 v18, vcc, s54, v18
	v_addc_co_u32_e32 v19, vcc, v20, v19, vcc
	global_load_dword v18, v[18:19], off
	s_waitcnt vmcnt(0)
	v_subrev_u32_e32 v18, s61, v18
.LBB22_19:                              ;   in Loop: Header=BB22_16 Depth=2
	v_lshlrev_b64 v[6:7], 2, v[6:7]
	v_mov_b32_e32 v19, s55
	v_add_co_u32_e32 v6, vcc, s54, v6
	v_addc_co_u32_e32 v7, vcc, v19, v7, vcc
	global_load_dword v6, v[6:7], off offset:4
	s_waitcnt vmcnt(1)
	v_add_u32_e32 v18, v18, v8
	s_waitcnt vmcnt(0)
	v_subrev_u32_e32 v19, s61, v6
	v_cmp_lt_i32_e32 vcc, v18, v19
	s_and_saveexec_b64 s[72:73], vcc
	s_cbranch_execz .LBB22_31
; %bb.20:                               ;   in Loop: Header=BB22_16 Depth=2
	s_mov_b64 s[76:77], 0
	v_mov_b32_e32 v20, v18
                                        ; implicit-def: $sgpr74_sgpr75
                                        ; implicit-def: $sgpr78_sgpr79
	s_branch .LBB22_22
.LBB22_21:                              ;   in Loop: Header=BB22_22 Depth=3
	s_or_b64 exec, exec, s[82:83]
	s_and_b64 s[40:41], exec, s[80:81]
	s_or_b64 s[76:77], s[40:41], s[76:77]
	s_andn2_b64 s[40:41], s[74:75], exec
	s_and_b64 s[74:75], s[78:79], exec
	s_or_b64 s[74:75], s[40:41], s[74:75]
	s_andn2_b64 exec, exec, s[76:77]
	s_cbranch_execz .LBB22_28
.LBB22_22:                              ;   Parent Loop BB22_7 Depth=1
                                        ;     Parent Loop BB22_16 Depth=2
                                        ; =>    This Inner Loop Header: Depth=3
	v_mov_b32_e32 v6, v20
	v_ashrrev_i32_e32 v7, 31, v6
	v_lshlrev_b64 v[20:21], 2, v[6:7]
	v_mov_b32_e32 v7, s57
	v_add_co_u32_e32 v20, vcc, s56, v20
	v_addc_co_u32_e32 v21, vcc, v7, v21, vcc
	global_load_dword v7, v[20:21], off
	s_waitcnt vmcnt(0)
	v_subrev_u32_e32 v7, s61, v7
	v_cmp_lt_i32_e32 vcc, v7, v15
	v_cmp_ge_i32_e64 s[40:41], v7, v16
	s_or_b64 s[80:81], vcc, s[40:41]
	s_mov_b64 s[40:41], 0
	s_and_saveexec_b64 s[82:83], s[80:81]
	s_xor_b64 s[80:81], exec, s[82:83]
; %bb.23:                               ;   in Loop: Header=BB22_22 Depth=3
	v_cmp_lt_i32_e32 vcc, v7, v16
	s_and_b64 s[40:41], vcc, exec
; %bb.24:                               ;   in Loop: Header=BB22_22 Depth=3
	s_andn2_saveexec_b64 s[80:81], s[80:81]
; %bb.25:                               ;   in Loop: Header=BB22_22 Depth=3
	v_sub_u32_e32 v20, v7, v15
	s_or_b64 s[40:41], s[40:41], exec
	ds_write_b8 v20, v14 offset:8192
; %bb.26:                               ;   in Loop: Header=BB22_22 Depth=3
	s_or_b64 exec, exec, s[80:81]
	s_mov_b64 s[80:81], -1
	s_or_b64 s[78:79], s[78:79], exec
                                        ; implicit-def: $vgpr20
	s_and_saveexec_b64 s[82:83], s[40:41]
	s_cbranch_execz .LBB22_21
; %bb.27:                               ;   in Loop: Header=BB22_22 Depth=3
	v_add_u32_e32 v20, 16, v6
	v_cmp_ge_i32_e32 vcc, v20, v19
	s_andn2_b64 s[78:79], s[78:79], exec
	s_orn2_b64 s[80:81], vcc, exec
	s_branch .LBB22_21
.LBB22_28:                              ;   in Loop: Header=BB22_16 Depth=2
	s_or_b64 exec, exec, s[76:77]
	s_and_saveexec_b64 s[40:41], s[74:75]
	s_xor_b64 s[40:41], exec, s[40:41]
; %bb.29:                               ;   in Loop: Header=BB22_16 Depth=2
	v_min_i32_e32 v17, v7, v17
	v_mov_b32_e32 v18, v6
; %bb.30:                               ;   in Loop: Header=BB22_16 Depth=2
	s_or_b64 exec, exec, s[40:41]
.LBB22_31:                              ;   in Loop: Header=BB22_16 Depth=2
	s_or_b64 exec, exec, s[72:73]
	v_mov_b32_dpp v6, v18 row_shr:1 row_mask:0xf bank_mask:0xf
	v_min_i32_e32 v6, v6, v18
	s_nop 1
	v_mov_b32_dpp v7, v6 row_shr:2 row_mask:0xf bank_mask:0xf
	v_min_i32_e32 v6, v7, v6
	s_nop 1
	;; [unrolled: 3-line block ×3, first 2 shown]
	v_mov_b32_dpp v7, v6 row_shr:8 row_mask:0xf bank_mask:0xc
	s_and_saveexec_b64 s[40:41], s[2:3]
	s_cbranch_execz .LBB22_15
; %bb.32:                               ;   in Loop: Header=BB22_16 Depth=2
	v_min_i32_e32 v6, v7, v6
	v_mov_b32_e32 v7, s51
	v_add_co_u32_e32 v4, vcc, s50, v4
	v_addc_co_u32_e32 v5, vcc, v7, v5, vcc
	global_store_dword v[4:5], v6, off
	s_branch .LBB22_15
.LBB22_33:                              ;   in Loop: Header=BB22_16 Depth=2
                                        ; implicit-def: $vgpr18
	s_branch .LBB22_18
.LBB22_34:                              ;   in Loop: Header=BB22_7 Depth=1
	ds_write_b8 v0, v13 offset:8192
	s_or_b64 exec, exec, s[38:39]
	s_and_saveexec_b64 s[38:39], s[66:67]
	s_cbranch_execz .LBB22_9
.LBB22_35:                              ;   in Loop: Header=BB22_7 Depth=1
	ds_write_b8 v0, v13 offset:8704
	s_or_b64 exec, exec, s[38:39]
	s_and_saveexec_b64 s[38:39], s[66:67]
	s_cbranch_execz .LBB22_10
.LBB22_36:                              ;   in Loop: Header=BB22_7 Depth=1
	ds_write_b8 v0, v13 offset:9216
	s_or_b64 exec, exec, s[38:39]
	s_and_saveexec_b64 s[38:39], s[66:67]
	s_cbranch_execz .LBB22_11
.LBB22_37:                              ;   in Loop: Header=BB22_7 Depth=1
	ds_write_b8 v0, v13 offset:9728
	s_or_b64 exec, exec, s[38:39]
	s_and_saveexec_b64 s[38:39], s[0:1]
	s_cbranch_execnz .LBB22_12
	s_branch .LBB22_13
.LBB22_38:                              ;   in Loop: Header=BB22_7 Depth=1
	s_or_b64 exec, exec, s[70:71]
.LBB22_39:                              ;   in Loop: Header=BB22_7 Depth=1
	s_or_b64 exec, exec, s[68:69]
	s_andn2_b64 vcc, exec, s[64:65]
	s_cbranch_vccnz .LBB22_53
; %bb.40:                               ;   in Loop: Header=BB22_7 Depth=1
	s_load_dwordx2 s[38:39], s[46:47], 0x0
	s_waitcnt lgkmcnt(0)
	s_sub_i32 s78, s39, s63
	v_add_u32_e32 v3, s38, v10
	v_cmp_gt_i32_e32 vcc, s78, v3
	s_and_saveexec_b64 s[40:41], vcc
	s_cbranch_execz .LBB22_52
; %bb.41:                               ;   in Loop: Header=BB22_7 Depth=1
	s_mov_b64 s[68:69], 0
                                        ; implicit-def: $sgpr70_sgpr71
                                        ; implicit-def: $sgpr72_sgpr73
	s_branch .LBB22_43
.LBB22_42:                              ;   in Loop: Header=BB22_43 Depth=2
	s_or_b64 exec, exec, s[76:77]
	s_and_b64 s[38:39], exec, s[74:75]
	s_or_b64 s[68:69], s[38:39], s[68:69]
	s_andn2_b64 s[38:39], s[70:71], exec
	s_and_b64 s[70:71], s[72:73], exec
	s_or_b64 s[70:71], s[38:39], s[70:71]
	s_andn2_b64 exec, exec, s[68:69]
	s_cbranch_execz .LBB22_49
.LBB22_43:                              ;   Parent Loop BB22_7 Depth=1
                                        ; =>  This Inner Loop Header: Depth=2
	v_ashrrev_i32_e32 v4, 31, v3
	v_lshlrev_b64 v[4:5], 2, v[3:4]
	v_mov_b32_e32 v6, s45
	v_add_co_u32_e32 v4, vcc, s44, v4
	v_addc_co_u32_e32 v5, vcc, v6, v5, vcc
	global_load_dword v4, v[4:5], off
	s_waitcnt vmcnt(0)
	v_subrev_u32_e32 v4, s63, v4
	v_cmp_lt_i32_e32 vcc, v4, v15
	v_cmp_ge_i32_e64 s[38:39], v4, v16
	s_or_b64 s[74:75], vcc, s[38:39]
	s_mov_b64 s[38:39], 0
	s_and_saveexec_b64 s[76:77], s[74:75]
	s_xor_b64 s[74:75], exec, s[76:77]
; %bb.44:                               ;   in Loop: Header=BB22_43 Depth=2
	v_cmp_lt_i32_e32 vcc, v4, v16
	s_and_b64 s[38:39], vcc, exec
; %bb.45:                               ;   in Loop: Header=BB22_43 Depth=2
	s_andn2_saveexec_b64 s[74:75], s[74:75]
; %bb.46:                               ;   in Loop: Header=BB22_43 Depth=2
	v_sub_u32_e32 v5, v4, v15
	s_or_b64 s[38:39], s[38:39], exec
	ds_write_b8 v5, v14 offset:8192
; %bb.47:                               ;   in Loop: Header=BB22_43 Depth=2
	s_or_b64 exec, exec, s[74:75]
	s_mov_b64 s[74:75], -1
	s_or_b64 s[72:73], s[72:73], exec
	s_and_saveexec_b64 s[76:77], s[38:39]
	s_cbranch_execz .LBB22_42
; %bb.48:                               ;   in Loop: Header=BB22_43 Depth=2
	v_add_u32_e32 v3, 0x200, v3
	v_cmp_le_i32_e32 vcc, s78, v3
	s_andn2_b64 s[72:73], s[72:73], exec
	s_orn2_b64 s[74:75], vcc, exec
	s_branch .LBB22_42
.LBB22_49:                              ;   in Loop: Header=BB22_7 Depth=1
	s_or_b64 exec, exec, s[68:69]
	s_and_saveexec_b64 s[38:39], s[70:71]
	s_xor_b64 s[38:39], exec, s[38:39]
; %bb.50:                               ;   in Loop: Header=BB22_7 Depth=1
	v_min_i32_e32 v17, v4, v17
; %bb.51:                               ;   in Loop: Header=BB22_7 Depth=1
	s_or_b64 exec, exec, s[38:39]
.LBB22_52:                              ;   in Loop: Header=BB22_7 Depth=1
	s_or_b64 exec, exec, s[40:41]
.LBB22_53:                              ;   in Loop: Header=BB22_7 Depth=1
	v_mov_b32_dpp v3, v17 row_shr:1 row_mask:0xf bank_mask:0xf
	v_min_i32_e32 v3, v3, v17
	s_nop 1
	v_mov_b32_dpp v4, v3 row_shr:2 row_mask:0xf bank_mask:0xf
	v_min_i32_e32 v3, v4, v3
	s_nop 1
	;; [unrolled: 3-line block ×3, first 2 shown]
	v_mov_b32_dpp v4, v3 row_shr:8 row_mask:0xf bank_mask:0xc
	s_and_saveexec_b64 s[38:39], s[2:3]
	s_cbranch_execz .LBB22_58
; %bb.54:                               ;   in Loop: Header=BB22_7 Depth=1
	s_mov_b64 s[40:41], exec
	v_min_i32_e32 v3, v4, v3
	s_brev_b32 s68, -2
.LBB22_55:                              ;   Parent Loop BB22_7 Depth=1
                                        ; =>  This Inner Loop Header: Depth=2
	s_ff1_i32_b64 s69, s[40:41]
	v_readlane_b32 s72, v3, s69
	s_lshl_b64 s[70:71], 1, s69
	s_min_i32 s68, s68, s72
	s_andn2_b64 s[40:41], s[40:41], s[70:71]
	s_cmp_lg_u64 s[40:41], 0
	s_cbranch_scc1 .LBB22_55
; %bb.56:                               ;   in Loop: Header=BB22_7 Depth=1
	v_mbcnt_lo_u32_b32 v3, exec_lo, 0
	v_mbcnt_hi_u32_b32 v3, exec_hi, v3
	v_cmp_eq_u32_e32 vcc, 0, v3
	s_and_saveexec_b64 s[40:41], vcc
	s_xor_b64 s[40:41], exec, s[40:41]
; %bb.57:                               ;   in Loop: Header=BB22_7 Depth=1
	v_mov_b32_e32 v3, s68
	ds_min_i32 v13, v3 offset:10240
.LBB22_58:                              ;   in Loop: Header=BB22_7 Depth=1
	s_or_b64 exec, exec, s[38:39]
	v_add_u32_e32 v3, s62, v15
	s_mov_b64 s[38:39], 0
	v_mov_b32_e32 v4, v0
	s_waitcnt vmcnt(0) lgkmcnt(0)
	s_barrier
	s_branch .LBB22_60
.LBB22_59:                              ;   in Loop: Header=BB22_60 Depth=2
	s_or_b64 exec, exec, s[40:41]
	s_waitcnt vmcnt(0) lgkmcnt(0)
	s_barrier
	ds_read_b32 v5, v13 offset:60
	v_add_u32_e32 v6, 0x200, v4
	v_cmp_lt_u32_e32 vcc, s42, v4
	s_or_b64 s[38:39], vcc, s[38:39]
	v_mov_b32_e32 v4, v6
	s_waitcnt lgkmcnt(0)
	v_add_u32_e32 v12, v5, v12
	s_andn2_b64 exec, exec, s[38:39]
	s_cbranch_execz .LBB22_6
.LBB22_60:                              ;   Parent Loop BB22_7 Depth=1
                                        ; =>  This Inner Loop Header: Depth=2
	ds_read_u8 v23, v4 offset:8192
	s_waitcnt lgkmcnt(0)
	s_barrier
	v_cmp_ne_u16_e32 vcc, 0, v23
	s_bcnt1_i32_b64 s40, vcc
	v_mov_b32_e32 v6, s40
	ds_write_b32 v11, v6
	s_waitcnt lgkmcnt(0)
	s_barrier
	ds_read_b128 v[15:18], v13
	ds_read_b128 v[19:22], v13 offset:16
	v_and_b32_e32 v6, vcc_lo, v1
	v_and_b32_e32 v5, vcc_hi, v2
	v_bcnt_u32_b32 v6, v6, 0
	v_bcnt_u32_b32 v5, v5, v6
	s_waitcnt lgkmcnt(1)
	v_cndmask_b32_e64 v6, v15, 0, s[6:7]
	v_add_u32_e32 v5, v6, v5
	v_cndmask_b32_e64 v6, v16, 0, s[36:37]
	v_cndmask_b32_e64 v7, v17, 0, s[8:9]
	v_add3_u32 v5, v5, v6, v7
	v_cndmask_b32_e64 v6, v18, 0, s[10:11]
	ds_read_b128 v[15:18], v13 offset:32
	s_waitcnt lgkmcnt(1)
	v_cndmask_b32_e64 v7, v19, 0, s[12:13]
	v_add3_u32 v19, v5, v6, v7
	ds_read_b96 v[5:7], v13 offset:48
	v_cndmask_b32_e64 v20, v20, 0, s[14:15]
	v_cndmask_b32_e64 v21, v21, 0, s[16:17]
	v_cndmask_b32_e64 v22, v22, 0, s[18:19]
	v_add3_u32 v19, v19, v20, v21
	s_waitcnt lgkmcnt(1)
	v_cndmask_b32_e64 v15, v15, 0, s[20:21]
	v_add3_u32 v15, v19, v22, v15
	v_cndmask_b32_e64 v16, v16, 0, s[22:23]
	v_cndmask_b32_e64 v17, v17, 0, s[24:25]
	v_add3_u32 v15, v15, v16, v17
	v_cndmask_b32_e64 v16, v18, 0, s[26:27]
	s_waitcnt lgkmcnt(0)
	v_cndmask_b32_e64 v5, v5, 0, s[28:29]
	v_add3_u32 v5, v15, v16, v5
	v_cndmask_b32_e64 v6, v6, 0, s[30:31]
	v_cndmask_b32_e64 v7, v7, 0, s[34:35]
	v_add3_u32 v5, v5, v6, v7
	v_and_b32_e32 v6, 1, v23
	v_cmp_eq_u32_e32 vcc, 1, v6
	s_and_saveexec_b64 s[40:41], vcc
	s_cbranch_execz .LBB22_62
; %bb.61:                               ;   in Loop: Header=BB22_60 Depth=2
	v_add_u32_e32 v6, v5, v12
	v_ashrrev_i32_e32 v7, 31, v6
	v_lshlrev_b64 v[6:7], 2, v[6:7]
	v_mov_b32_e32 v16, s49
	v_add_co_u32_e32 v6, vcc, s48, v6
	v_add_u32_e32 v15, v3, v4
	v_addc_co_u32_e32 v7, vcc, v16, v7, vcc
	global_store_dword v[6:7], v15, off offset:-4
.LBB22_62:                              ;   in Loop: Header=BB22_60 Depth=2
	s_or_b64 exec, exec, s[40:41]
	s_and_saveexec_b64 s[40:41], s[4:5]
	s_cbranch_execz .LBB22_59
; %bb.63:                               ;   in Loop: Header=BB22_60 Depth=2
	ds_write_b32 v13, v5 offset:60
	s_branch .LBB22_59
.LBB22_64:
	s_endpgm
	.section	.rodata,"a",@progbits
	.p2align	6, 0x0
	.amdhsa_kernel _ZN9rocsparseL45csrgemm_symbolic_fill_block_per_row_multipassILj512ELj16ELj2048ELj32EiiEEvT4_PKS1_S3_PKT3_S3_S6_S3_S6_S3_S6_PS1_PS4_21rocsparse_index_base_S9_S9_S9_bb
		.amdhsa_group_segment_fixed_size 10244
		.amdhsa_private_segment_fixed_size 0
		.amdhsa_kernarg_size 116
		.amdhsa_user_sgpr_count 6
		.amdhsa_user_sgpr_private_segment_buffer 1
		.amdhsa_user_sgpr_dispatch_ptr 0
		.amdhsa_user_sgpr_queue_ptr 0
		.amdhsa_user_sgpr_kernarg_segment_ptr 1
		.amdhsa_user_sgpr_dispatch_id 0
		.amdhsa_user_sgpr_flat_scratch_init 0
		.amdhsa_user_sgpr_private_segment_size 0
		.amdhsa_uses_dynamic_stack 0
		.amdhsa_system_sgpr_private_segment_wavefront_offset 0
		.amdhsa_system_sgpr_workgroup_id_x 1
		.amdhsa_system_sgpr_workgroup_id_y 0
		.amdhsa_system_sgpr_workgroup_id_z 0
		.amdhsa_system_sgpr_workgroup_info 0
		.amdhsa_system_vgpr_workitem_id 0
		.amdhsa_next_free_vgpr 24
		.amdhsa_next_free_sgpr 84
		.amdhsa_reserve_vcc 1
		.amdhsa_reserve_flat_scratch 0
		.amdhsa_float_round_mode_32 0
		.amdhsa_float_round_mode_16_64 0
		.amdhsa_float_denorm_mode_32 3
		.amdhsa_float_denorm_mode_16_64 3
		.amdhsa_dx10_clamp 1
		.amdhsa_ieee_mode 1
		.amdhsa_fp16_overflow 0
		.amdhsa_exception_fp_ieee_invalid_op 0
		.amdhsa_exception_fp_denorm_src 0
		.amdhsa_exception_fp_ieee_div_zero 0
		.amdhsa_exception_fp_ieee_overflow 0
		.amdhsa_exception_fp_ieee_underflow 0
		.amdhsa_exception_fp_ieee_inexact 0
		.amdhsa_exception_int_div_zero 0
	.end_amdhsa_kernel
	.section	.text._ZN9rocsparseL45csrgemm_symbolic_fill_block_per_row_multipassILj512ELj16ELj2048ELj32EiiEEvT4_PKS1_S3_PKT3_S3_S6_S3_S6_S3_S6_PS1_PS4_21rocsparse_index_base_S9_S9_S9_bb,"axG",@progbits,_ZN9rocsparseL45csrgemm_symbolic_fill_block_per_row_multipassILj512ELj16ELj2048ELj32EiiEEvT4_PKS1_S3_PKT3_S3_S6_S3_S6_S3_S6_PS1_PS4_21rocsparse_index_base_S9_S9_S9_bb,comdat
.Lfunc_end22:
	.size	_ZN9rocsparseL45csrgemm_symbolic_fill_block_per_row_multipassILj512ELj16ELj2048ELj32EiiEEvT4_PKS1_S3_PKT3_S3_S6_S3_S6_S3_S6_PS1_PS4_21rocsparse_index_base_S9_S9_S9_bb, .Lfunc_end22-_ZN9rocsparseL45csrgemm_symbolic_fill_block_per_row_multipassILj512ELj16ELj2048ELj32EiiEEvT4_PKS1_S3_PKT3_S3_S6_S3_S6_S3_S6_PS1_PS4_21rocsparse_index_base_S9_S9_S9_bb
                                        ; -- End function
	.set _ZN9rocsparseL45csrgemm_symbolic_fill_block_per_row_multipassILj512ELj16ELj2048ELj32EiiEEvT4_PKS1_S3_PKT3_S3_S6_S3_S6_S3_S6_PS1_PS4_21rocsparse_index_base_S9_S9_S9_bb.num_vgpr, 24
	.set _ZN9rocsparseL45csrgemm_symbolic_fill_block_per_row_multipassILj512ELj16ELj2048ELj32EiiEEvT4_PKS1_S3_PKT3_S3_S6_S3_S6_S3_S6_PS1_PS4_21rocsparse_index_base_S9_S9_S9_bb.num_agpr, 0
	.set _ZN9rocsparseL45csrgemm_symbolic_fill_block_per_row_multipassILj512ELj16ELj2048ELj32EiiEEvT4_PKS1_S3_PKT3_S3_S6_S3_S6_S3_S6_PS1_PS4_21rocsparse_index_base_S9_S9_S9_bb.numbered_sgpr, 84
	.set _ZN9rocsparseL45csrgemm_symbolic_fill_block_per_row_multipassILj512ELj16ELj2048ELj32EiiEEvT4_PKS1_S3_PKT3_S3_S6_S3_S6_S3_S6_PS1_PS4_21rocsparse_index_base_S9_S9_S9_bb.num_named_barrier, 0
	.set _ZN9rocsparseL45csrgemm_symbolic_fill_block_per_row_multipassILj512ELj16ELj2048ELj32EiiEEvT4_PKS1_S3_PKT3_S3_S6_S3_S6_S3_S6_PS1_PS4_21rocsparse_index_base_S9_S9_S9_bb.private_seg_size, 0
	.set _ZN9rocsparseL45csrgemm_symbolic_fill_block_per_row_multipassILj512ELj16ELj2048ELj32EiiEEvT4_PKS1_S3_PKT3_S3_S6_S3_S6_S3_S6_PS1_PS4_21rocsparse_index_base_S9_S9_S9_bb.uses_vcc, 1
	.set _ZN9rocsparseL45csrgemm_symbolic_fill_block_per_row_multipassILj512ELj16ELj2048ELj32EiiEEvT4_PKS1_S3_PKT3_S3_S6_S3_S6_S3_S6_PS1_PS4_21rocsparse_index_base_S9_S9_S9_bb.uses_flat_scratch, 0
	.set _ZN9rocsparseL45csrgemm_symbolic_fill_block_per_row_multipassILj512ELj16ELj2048ELj32EiiEEvT4_PKS1_S3_PKT3_S3_S6_S3_S6_S3_S6_PS1_PS4_21rocsparse_index_base_S9_S9_S9_bb.has_dyn_sized_stack, 0
	.set _ZN9rocsparseL45csrgemm_symbolic_fill_block_per_row_multipassILj512ELj16ELj2048ELj32EiiEEvT4_PKS1_S3_PKT3_S3_S6_S3_S6_S3_S6_PS1_PS4_21rocsparse_index_base_S9_S9_S9_bb.has_recursion, 0
	.set _ZN9rocsparseL45csrgemm_symbolic_fill_block_per_row_multipassILj512ELj16ELj2048ELj32EiiEEvT4_PKS1_S3_PKT3_S3_S6_S3_S6_S3_S6_PS1_PS4_21rocsparse_index_base_S9_S9_S9_bb.has_indirect_call, 0
	.section	.AMDGPU.csdata,"",@progbits
; Kernel info:
; codeLenInByte = 2192
; TotalNumSgprs: 88
; NumVgprs: 24
; ScratchSize: 0
; MemoryBound: 0
; FloatMode: 240
; IeeeMode: 1
; LDSByteSize: 10244 bytes/workgroup (compile time only)
; SGPRBlocks: 10
; VGPRBlocks: 5
; NumSGPRsForWavesPerEU: 88
; NumVGPRsForWavesPerEU: 24
; Occupancy: 9
; WaveLimiterHint : 1
; COMPUTE_PGM_RSRC2:SCRATCH_EN: 0
; COMPUTE_PGM_RSRC2:USER_SGPR: 6
; COMPUTE_PGM_RSRC2:TRAP_HANDLER: 0
; COMPUTE_PGM_RSRC2:TGID_X_EN: 1
; COMPUTE_PGM_RSRC2:TGID_Y_EN: 0
; COMPUTE_PGM_RSRC2:TGID_Z_EN: 0
; COMPUTE_PGM_RSRC2:TIDIG_COMP_CNT: 0
	.section	.text._ZN9rocsparseL45csrgemm_symbolic_fill_block_per_row_multipassILj512ELj16ELj2048ELj64EiiEEvT4_PKS1_S3_PKT3_S3_S6_S3_S6_S3_S6_PS1_PS4_21rocsparse_index_base_S9_S9_S9_bb,"axG",@progbits,_ZN9rocsparseL45csrgemm_symbolic_fill_block_per_row_multipassILj512ELj16ELj2048ELj64EiiEEvT4_PKS1_S3_PKT3_S3_S6_S3_S6_S3_S6_PS1_PS4_21rocsparse_index_base_S9_S9_S9_bb,comdat
	.globl	_ZN9rocsparseL45csrgemm_symbolic_fill_block_per_row_multipassILj512ELj16ELj2048ELj64EiiEEvT4_PKS1_S3_PKT3_S3_S6_S3_S6_S3_S6_PS1_PS4_21rocsparse_index_base_S9_S9_S9_bb ; -- Begin function _ZN9rocsparseL45csrgemm_symbolic_fill_block_per_row_multipassILj512ELj16ELj2048ELj64EiiEEvT4_PKS1_S3_PKT3_S3_S6_S3_S6_S3_S6_PS1_PS4_21rocsparse_index_base_S9_S9_S9_bb
	.p2align	8
	.type	_ZN9rocsparseL45csrgemm_symbolic_fill_block_per_row_multipassILj512ELj16ELj2048ELj64EiiEEvT4_PKS1_S3_PKT3_S3_S6_S3_S6_S3_S6_PS1_PS4_21rocsparse_index_base_S9_S9_S9_bb,@function
_ZN9rocsparseL45csrgemm_symbolic_fill_block_per_row_multipassILj512ELj16ELj2048ELj64EiiEEvT4_PKS1_S3_PKT3_S3_S6_S3_S6_S3_S6_PS1_PS4_21rocsparse_index_base_S9_S9_S9_bb: ; @_ZN9rocsparseL45csrgemm_symbolic_fill_block_per_row_multipassILj512ELj16ELj2048ELj64EiiEEvT4_PKS1_S3_PKT3_S3_S6_S3_S6_S3_S6_PS1_PS4_21rocsparse_index_base_S9_S9_S9_bb
; %bb.0:
	s_load_dwordx4 s[8:11], s[4:5], 0x8
	s_load_dword s7, s[4:5], 0x70
	s_load_dwordx2 s[2:3], s[4:5], 0x18
	s_mov_b32 s27, 0
	s_waitcnt lgkmcnt(0)
	s_load_dword s0, s[8:9], 0x0
	s_load_dwordx4 s[28:31], s[4:5], 0x60
	s_bitcmp1_b32 s7, 0
	s_cselect_b64 s[8:9], -1, 0
	s_waitcnt lgkmcnt(0)
	s_add_i32 s26, s0, s6
	s_lshl_b64 s[0:1], s[26:27], 2
	s_add_u32 s0, s10, s0
	s_addc_u32 s1, s11, s1
	s_load_dword s0, s[0:1], 0x0
	s_bitcmp0_b32 s7, 0
	s_mov_b32 s6, 0
	s_cbranch_scc0 .LBB23_3
; %bb.1:
	s_andn2_b64 vcc, exec, s[8:9]
	s_cbranch_vccz .LBB23_4
.LBB23_2:
	s_load_dword s26, s[4:5], 0x0
	s_waitcnt lgkmcnt(0)
	s_cmp_lt_i32 s26, 1
	s_cbranch_scc0 .LBB23_5
	s_branch .LBB23_64
.LBB23_3:
	s_waitcnt lgkmcnt(0)
	s_ashr_i32 s1, s0, 31
	s_lshl_b64 s[10:11], s[0:1], 2
	s_add_u32 s10, s2, s10
	s_addc_u32 s11, s3, s11
	s_load_dword s1, s[10:11], 0x0
	s_waitcnt lgkmcnt(0)
	s_sub_i32 s6, s1, s28
	s_andn2_b64 vcc, exec, s[8:9]
	s_cbranch_vccnz .LBB23_2
.LBB23_4:
	s_waitcnt lgkmcnt(0)
	s_ashr_i32 s1, s0, 31
	s_lshl_b64 s[10:11], s[0:1], 2
	s_add_u32 s2, s2, s10
	s_addc_u32 s3, s3, s11
	s_load_dword s1, s[2:3], 0x4
	s_waitcnt lgkmcnt(0)
	s_sub_i32 s27, s1, s28
	s_load_dword s26, s[4:5], 0x0
	s_waitcnt lgkmcnt(0)
	s_cmp_lt_i32 s26, 1
	s_cbranch_scc1 .LBB23_64
.LBB23_5:
	s_load_dwordx8 s[36:43], s[4:5], 0x40
	s_bitcmp1_b32 s7, 8
	s_cselect_b64 s[20:21], -1, 0
	s_ashr_i32 s1, s0, 31
	s_lshl_b64 s[10:11], s[0:1], 2
	s_waitcnt lgkmcnt(0)
	s_add_u32 s0, s38, s10
	s_addc_u32 s1, s39, s11
	s_load_dword s2, s[0:1], 0x0
	s_load_dwordx8 s[44:51], s[4:5], 0x20
	v_lshrrev_b32_e32 v3, 4, v0
	v_mbcnt_lo_u32_b32 v1, -1, 0
	v_add_u32_e32 v9, s6, v3
	s_waitcnt lgkmcnt(0)
	s_sub_i32 s22, s2, s30
	v_mbcnt_hi_u32_b32 v1, -1, v1
	v_cmp_gt_i32_e32 vcc, s27, v9
	s_add_u32 s34, s50, s10
	v_sub_u32_e32 v1, 63, v1
	v_and_b32_e32 v8, 15, v0
	s_addc_u32 s35, s51, s11
	v_lshrrev_b64 v[1:2], v1, -1
	v_and_b32_e32 v11, 28, v3
	s_movk_i32 s4, 0x1ff
	s_and_b64 s[38:39], s[8:9], vcc
	s_movk_i32 s8, 0x80
	s_movk_i32 s10, 0xc0
	;; [unrolled: 1-line block ×6, first 2 shown]
	v_cndmask_b32_e64 v3, 0, 1, s[20:21]
	v_cmp_eq_u32_e64 s[0:1], 0, v0
	v_cmp_eq_u32_e64 s[2:3], 15, v8
	v_subrev_u32_e32 v10, s31, v0
	v_cmp_eq_u32_e64 s[4:5], s4, v0
	v_cmp_gt_u32_e64 s[6:7], 64, v0
	v_cmp_gt_u32_e64 s[8:9], s8, v0
	;; [unrolled: 1-line block ×7, first 2 shown]
	s_mov_b64 s[50:51], -1
	v_mov_b32_e32 v12, 0
	v_mov_b32_e32 v16, 0x800
	;; [unrolled: 1-line block ×4, first 2 shown]
	v_cmp_ne_u32_e64 s[20:21], 1, v3
	s_movk_i32 s33, 0x5ff
	v_mov_b32_e32 v15, 0
	s_branch .LBB23_7
.LBB23_6:                               ;   in Loop: Header=BB23_7 Depth=1
	s_or_b64 exec, exec, s[22:23]
	ds_read_b32 v15, v12 offset:10240
	s_waitcnt lgkmcnt(0)
	s_barrier
	v_cmp_le_i32_e32 vcc, s26, v15
	v_add_u32_e32 v16, 0x800, v15
	s_cbranch_vccnz .LBB23_64
.LBB23_7:                               ; =>This Loop Header: Depth=1
                                        ;     Child Loop BB23_16 Depth 2
                                        ;       Child Loop BB23_22 Depth 3
                                        ;     Child Loop BB23_43 Depth 2
                                        ;     Child Loop BB23_55 Depth 2
	;; [unrolled: 1-line block ×3, first 2 shown]
	s_and_saveexec_b64 s[22:23], s[50:51]
	s_cbranch_execnz .LBB23_34
; %bb.8:                                ;   in Loop: Header=BB23_7 Depth=1
	s_or_b64 exec, exec, s[22:23]
	s_and_saveexec_b64 s[22:23], s[50:51]
	s_cbranch_execnz .LBB23_35
.LBB23_9:                               ;   in Loop: Header=BB23_7 Depth=1
	s_or_b64 exec, exec, s[22:23]
	s_and_saveexec_b64 s[22:23], s[50:51]
	s_cbranch_execnz .LBB23_36
.LBB23_10:                              ;   in Loop: Header=BB23_7 Depth=1
	s_or_b64 exec, exec, s[22:23]
	s_and_saveexec_b64 s[22:23], s[50:51]
	s_cbranch_execnz .LBB23_37
.LBB23_11:                              ;   in Loop: Header=BB23_7 Depth=1
	s_or_b64 exec, exec, s[22:23]
	s_and_saveexec_b64 s[22:23], s[0:1]
.LBB23_12:                              ;   in Loop: Header=BB23_7 Depth=1
	v_mov_b32_e32 v3, s26
	ds_write_b32 v12, v3 offset:10240
.LBB23_13:                              ;   in Loop: Header=BB23_7 Depth=1
	s_or_b64 exec, exec, s[22:23]
	v_mov_b32_e32 v17, s26
	s_waitcnt lgkmcnt(0)
	s_barrier
	s_and_saveexec_b64 s[52:53], s[38:39]
	s_cbranch_execz .LBB23_39
; %bb.14:                               ;   in Loop: Header=BB23_7 Depth=1
	s_mov_b64 s[54:55], 0
	v_cmp_ne_u32_e64 s[22:23], 0, v15
	v_mov_b32_e32 v17, s26
	v_mov_b32_e32 v3, v9
	s_branch .LBB23_16
.LBB23_15:                              ;   in Loop: Header=BB23_16 Depth=2
	s_or_b64 exec, exec, s[24:25]
	v_add_u32_e32 v3, 32, v3
	v_cmp_le_i32_e32 vcc, s27, v3
	s_or_b64 s[54:55], vcc, s[54:55]
	s_andn2_b64 exec, exec, s[54:55]
	s_cbranch_execz .LBB23_38
.LBB23_16:                              ;   Parent Loop BB23_7 Depth=1
                                        ; =>  This Loop Header: Depth=2
                                        ;       Child Loop BB23_22 Depth 3
	v_ashrrev_i32_e32 v4, 31, v3
	v_lshlrev_b64 v[4:5], 2, v[3:4]
	v_mov_b32_e32 v7, s45
	v_add_co_u32_e32 v6, vcc, s44, v4
	v_addc_co_u32_e32 v7, vcc, v7, v5, vcc
	global_load_dword v6, v[6:7], off
	s_and_b64 vcc, exec, s[22:23]
	s_waitcnt vmcnt(0)
	v_subrev_u32_e32 v6, s28, v6
	v_ashrrev_i32_e32 v7, 31, v6
	s_cbranch_vccz .LBB23_33
; %bb.17:                               ;   in Loop: Header=BB23_16 Depth=2
	v_mov_b32_e32 v19, s43
	v_add_co_u32_e32 v18, vcc, s42, v4
	v_addc_co_u32_e32 v19, vcc, v19, v5, vcc
	global_load_dword v18, v[18:19], off
	s_cbranch_execnz .LBB23_19
.LBB23_18:                              ;   in Loop: Header=BB23_16 Depth=2
	s_waitcnt vmcnt(0)
	v_lshlrev_b64 v[18:19], 2, v[6:7]
	v_mov_b32_e32 v20, s47
	v_add_co_u32_e32 v18, vcc, s46, v18
	v_addc_co_u32_e32 v19, vcc, v20, v19, vcc
	global_load_dword v18, v[18:19], off
	s_waitcnt vmcnt(0)
	v_subrev_u32_e32 v18, s29, v18
.LBB23_19:                              ;   in Loop: Header=BB23_16 Depth=2
	v_lshlrev_b64 v[6:7], 2, v[6:7]
	v_mov_b32_e32 v19, s47
	v_add_co_u32_e32 v6, vcc, s46, v6
	v_addc_co_u32_e32 v7, vcc, v19, v7, vcc
	global_load_dword v6, v[6:7], off offset:4
	s_waitcnt vmcnt(1)
	v_add_u32_e32 v18, v18, v8
	s_waitcnt vmcnt(0)
	v_subrev_u32_e32 v19, s29, v6
	v_cmp_lt_i32_e32 vcc, v18, v19
	s_and_saveexec_b64 s[56:57], vcc
	s_cbranch_execz .LBB23_31
; %bb.20:                               ;   in Loop: Header=BB23_16 Depth=2
	s_mov_b64 s[60:61], 0
	v_mov_b32_e32 v20, v18
                                        ; implicit-def: $sgpr58_sgpr59
                                        ; implicit-def: $sgpr62_sgpr63
	s_branch .LBB23_22
.LBB23_21:                              ;   in Loop: Header=BB23_22 Depth=3
	s_or_b64 exec, exec, s[66:67]
	s_and_b64 s[24:25], exec, s[64:65]
	s_or_b64 s[60:61], s[24:25], s[60:61]
	s_andn2_b64 s[24:25], s[58:59], exec
	s_and_b64 s[58:59], s[62:63], exec
	s_or_b64 s[58:59], s[24:25], s[58:59]
	s_andn2_b64 exec, exec, s[60:61]
	s_cbranch_execz .LBB23_28
.LBB23_22:                              ;   Parent Loop BB23_7 Depth=1
                                        ;     Parent Loop BB23_16 Depth=2
                                        ; =>    This Inner Loop Header: Depth=3
	v_mov_b32_e32 v6, v20
	v_ashrrev_i32_e32 v7, 31, v6
	v_lshlrev_b64 v[20:21], 2, v[6:7]
	v_mov_b32_e32 v7, s49
	v_add_co_u32_e32 v20, vcc, s48, v20
	v_addc_co_u32_e32 v21, vcc, v7, v21, vcc
	global_load_dword v7, v[20:21], off
	s_waitcnt vmcnt(0)
	v_subrev_u32_e32 v7, s29, v7
	v_cmp_lt_i32_e32 vcc, v7, v15
	v_cmp_ge_i32_e64 s[24:25], v7, v16
	s_or_b64 s[64:65], vcc, s[24:25]
	s_mov_b64 s[24:25], 0
	s_and_saveexec_b64 s[66:67], s[64:65]
	s_xor_b64 s[64:65], exec, s[66:67]
; %bb.23:                               ;   in Loop: Header=BB23_22 Depth=3
	v_cmp_lt_i32_e32 vcc, v7, v16
	s_and_b64 s[24:25], vcc, exec
; %bb.24:                               ;   in Loop: Header=BB23_22 Depth=3
	s_andn2_saveexec_b64 s[64:65], s[64:65]
; %bb.25:                               ;   in Loop: Header=BB23_22 Depth=3
	v_sub_u32_e32 v20, v7, v15
	s_or_b64 s[24:25], s[24:25], exec
	ds_write_b8 v20, v14 offset:8192
; %bb.26:                               ;   in Loop: Header=BB23_22 Depth=3
	s_or_b64 exec, exec, s[64:65]
	s_mov_b64 s[64:65], -1
	s_or_b64 s[62:63], s[62:63], exec
                                        ; implicit-def: $vgpr20
	s_and_saveexec_b64 s[66:67], s[24:25]
	s_cbranch_execz .LBB23_21
; %bb.27:                               ;   in Loop: Header=BB23_22 Depth=3
	v_add_u32_e32 v20, 16, v6
	v_cmp_ge_i32_e32 vcc, v20, v19
	s_andn2_b64 s[62:63], s[62:63], exec
	s_orn2_b64 s[64:65], vcc, exec
	s_branch .LBB23_21
.LBB23_28:                              ;   in Loop: Header=BB23_16 Depth=2
	s_or_b64 exec, exec, s[60:61]
	s_and_saveexec_b64 s[24:25], s[58:59]
	s_xor_b64 s[24:25], exec, s[24:25]
; %bb.29:                               ;   in Loop: Header=BB23_16 Depth=2
	v_min_i32_e32 v17, v7, v17
	v_mov_b32_e32 v18, v6
; %bb.30:                               ;   in Loop: Header=BB23_16 Depth=2
	s_or_b64 exec, exec, s[24:25]
.LBB23_31:                              ;   in Loop: Header=BB23_16 Depth=2
	s_or_b64 exec, exec, s[56:57]
	v_mov_b32_dpp v6, v18 row_shr:1 row_mask:0xf bank_mask:0xf
	v_min_i32_e32 v6, v6, v18
	s_nop 1
	v_mov_b32_dpp v7, v6 row_shr:2 row_mask:0xf bank_mask:0xf
	v_min_i32_e32 v6, v7, v6
	s_nop 1
	;; [unrolled: 3-line block ×3, first 2 shown]
	v_mov_b32_dpp v7, v6 row_shr:8 row_mask:0xf bank_mask:0xc
	s_and_saveexec_b64 s[24:25], s[2:3]
	s_cbranch_execz .LBB23_15
; %bb.32:                               ;   in Loop: Header=BB23_16 Depth=2
	v_min_i32_e32 v6, v7, v6
	v_mov_b32_e32 v7, s43
	v_add_co_u32_e32 v4, vcc, s42, v4
	v_addc_co_u32_e32 v5, vcc, v7, v5, vcc
	global_store_dword v[4:5], v6, off
	s_branch .LBB23_15
.LBB23_33:                              ;   in Loop: Header=BB23_16 Depth=2
                                        ; implicit-def: $vgpr18
	s_branch .LBB23_18
.LBB23_34:                              ;   in Loop: Header=BB23_7 Depth=1
	ds_write_b8 v0, v12 offset:8192
	s_or_b64 exec, exec, s[22:23]
	s_and_saveexec_b64 s[22:23], s[50:51]
	s_cbranch_execz .LBB23_9
.LBB23_35:                              ;   in Loop: Header=BB23_7 Depth=1
	ds_write_b8 v0, v12 offset:8704
	s_or_b64 exec, exec, s[22:23]
	s_and_saveexec_b64 s[22:23], s[50:51]
	s_cbranch_execz .LBB23_10
.LBB23_36:                              ;   in Loop: Header=BB23_7 Depth=1
	ds_write_b8 v0, v12 offset:9216
	s_or_b64 exec, exec, s[22:23]
	s_and_saveexec_b64 s[22:23], s[50:51]
	s_cbranch_execz .LBB23_11
.LBB23_37:                              ;   in Loop: Header=BB23_7 Depth=1
	ds_write_b8 v0, v12 offset:9728
	s_or_b64 exec, exec, s[22:23]
	s_and_saveexec_b64 s[22:23], s[0:1]
	s_cbranch_execnz .LBB23_12
	s_branch .LBB23_13
.LBB23_38:                              ;   in Loop: Header=BB23_7 Depth=1
	s_or_b64 exec, exec, s[54:55]
.LBB23_39:                              ;   in Loop: Header=BB23_7 Depth=1
	s_or_b64 exec, exec, s[52:53]
	s_and_b64 vcc, exec, s[20:21]
	s_cbranch_vccnz .LBB23_53
; %bb.40:                               ;   in Loop: Header=BB23_7 Depth=1
	s_load_dwordx2 s[22:23], s[34:35], 0x0
	s_waitcnt lgkmcnt(0)
	s_sub_i32 s62, s23, s31
	v_add_u32_e32 v3, s22, v10
	v_cmp_gt_i32_e32 vcc, s62, v3
	s_and_saveexec_b64 s[24:25], vcc
	s_cbranch_execz .LBB23_52
; %bb.41:                               ;   in Loop: Header=BB23_7 Depth=1
	s_mov_b64 s[52:53], 0
                                        ; implicit-def: $sgpr54_sgpr55
                                        ; implicit-def: $sgpr56_sgpr57
	s_branch .LBB23_43
.LBB23_42:                              ;   in Loop: Header=BB23_43 Depth=2
	s_or_b64 exec, exec, s[60:61]
	s_and_b64 s[22:23], exec, s[58:59]
	s_or_b64 s[52:53], s[22:23], s[52:53]
	s_andn2_b64 s[22:23], s[54:55], exec
	s_and_b64 s[54:55], s[56:57], exec
	s_or_b64 s[54:55], s[22:23], s[54:55]
	s_andn2_b64 exec, exec, s[52:53]
	s_cbranch_execz .LBB23_49
.LBB23_43:                              ;   Parent Loop BB23_7 Depth=1
                                        ; =>  This Inner Loop Header: Depth=2
	v_ashrrev_i32_e32 v4, 31, v3
	v_lshlrev_b64 v[4:5], 2, v[3:4]
	v_mov_b32_e32 v6, s37
	v_add_co_u32_e32 v4, vcc, s36, v4
	v_addc_co_u32_e32 v5, vcc, v6, v5, vcc
	global_load_dword v4, v[4:5], off
	s_waitcnt vmcnt(0)
	v_subrev_u32_e32 v4, s31, v4
	v_cmp_lt_i32_e32 vcc, v4, v15
	v_cmp_ge_i32_e64 s[22:23], v4, v16
	s_or_b64 s[58:59], vcc, s[22:23]
	s_mov_b64 s[22:23], 0
	s_and_saveexec_b64 s[60:61], s[58:59]
	s_xor_b64 s[58:59], exec, s[60:61]
; %bb.44:                               ;   in Loop: Header=BB23_43 Depth=2
	v_cmp_lt_i32_e32 vcc, v4, v16
	s_and_b64 s[22:23], vcc, exec
; %bb.45:                               ;   in Loop: Header=BB23_43 Depth=2
	s_andn2_saveexec_b64 s[58:59], s[58:59]
; %bb.46:                               ;   in Loop: Header=BB23_43 Depth=2
	v_sub_u32_e32 v5, v4, v15
	s_or_b64 s[22:23], s[22:23], exec
	ds_write_b8 v5, v14 offset:8192
; %bb.47:                               ;   in Loop: Header=BB23_43 Depth=2
	s_or_b64 exec, exec, s[58:59]
	s_mov_b64 s[58:59], -1
	s_or_b64 s[56:57], s[56:57], exec
	s_and_saveexec_b64 s[60:61], s[22:23]
	s_cbranch_execz .LBB23_42
; %bb.48:                               ;   in Loop: Header=BB23_43 Depth=2
	v_add_u32_e32 v3, 0x200, v3
	v_cmp_le_i32_e32 vcc, s62, v3
	s_andn2_b64 s[56:57], s[56:57], exec
	s_orn2_b64 s[58:59], vcc, exec
	s_branch .LBB23_42
.LBB23_49:                              ;   in Loop: Header=BB23_7 Depth=1
	s_or_b64 exec, exec, s[52:53]
	s_and_saveexec_b64 s[22:23], s[54:55]
	s_xor_b64 s[22:23], exec, s[22:23]
; %bb.50:                               ;   in Loop: Header=BB23_7 Depth=1
	v_min_i32_e32 v17, v4, v17
; %bb.51:                               ;   in Loop: Header=BB23_7 Depth=1
	s_or_b64 exec, exec, s[22:23]
.LBB23_52:                              ;   in Loop: Header=BB23_7 Depth=1
	s_or_b64 exec, exec, s[24:25]
.LBB23_53:                              ;   in Loop: Header=BB23_7 Depth=1
	v_mov_b32_dpp v3, v17 row_shr:1 row_mask:0xf bank_mask:0xf
	v_min_i32_e32 v3, v3, v17
	s_nop 1
	v_mov_b32_dpp v4, v3 row_shr:2 row_mask:0xf bank_mask:0xf
	v_min_i32_e32 v3, v4, v3
	s_nop 1
	;; [unrolled: 3-line block ×3, first 2 shown]
	v_mov_b32_dpp v4, v3 row_shr:8 row_mask:0xf bank_mask:0xc
	s_and_saveexec_b64 s[22:23], s[2:3]
	s_cbranch_execz .LBB23_58
; %bb.54:                               ;   in Loop: Header=BB23_7 Depth=1
	s_mov_b64 s[24:25], exec
	v_min_i32_e32 v3, v4, v3
	s_brev_b32 s52, -2
.LBB23_55:                              ;   Parent Loop BB23_7 Depth=1
                                        ; =>  This Inner Loop Header: Depth=2
	s_ff1_i32_b64 s53, s[24:25]
	v_readlane_b32 s56, v3, s53
	s_lshl_b64 s[54:55], 1, s53
	s_min_i32 s52, s52, s56
	s_andn2_b64 s[24:25], s[24:25], s[54:55]
	s_cmp_lg_u64 s[24:25], 0
	s_cbranch_scc1 .LBB23_55
; %bb.56:                               ;   in Loop: Header=BB23_7 Depth=1
	v_mbcnt_lo_u32_b32 v3, exec_lo, 0
	v_mbcnt_hi_u32_b32 v3, exec_hi, v3
	v_cmp_eq_u32_e32 vcc, 0, v3
	s_and_saveexec_b64 s[24:25], vcc
	s_xor_b64 s[24:25], exec, s[24:25]
; %bb.57:                               ;   in Loop: Header=BB23_7 Depth=1
	v_mov_b32_e32 v3, s52
	ds_min_i32 v12, v3 offset:10240
.LBB23_58:                              ;   in Loop: Header=BB23_7 Depth=1
	s_or_b64 exec, exec, s[22:23]
	v_add_u32_e32 v3, s30, v15
	s_mov_b64 s[22:23], 0
	v_mov_b32_e32 v4, v0
	s_waitcnt vmcnt(0) lgkmcnt(0)
	s_barrier
	s_branch .LBB23_60
.LBB23_59:                              ;   in Loop: Header=BB23_60 Depth=2
	s_or_b64 exec, exec, s[24:25]
	s_waitcnt vmcnt(0) lgkmcnt(0)
	s_barrier
	ds_read_b32 v5, v12 offset:28
	v_add_u32_e32 v6, 0x200, v4
	v_cmp_lt_u32_e32 vcc, s33, v4
	s_or_b64 s[22:23], vcc, s[22:23]
	v_mov_b32_e32 v4, v6
	s_waitcnt lgkmcnt(0)
	v_add_u32_e32 v13, v5, v13
	s_andn2_b64 exec, exec, s[22:23]
	s_cbranch_execz .LBB23_6
.LBB23_60:                              ;   Parent Loop BB23_7 Depth=1
                                        ; =>  This Inner Loop Header: Depth=2
	ds_read_u8 v19, v4 offset:8192
	s_waitcnt lgkmcnt(0)
	s_barrier
	v_cmp_ne_u16_e32 vcc, 0, v19
	s_bcnt1_i32_b64 s24, vcc
	v_mov_b32_e32 v6, s24
	ds_write_b32 v11, v6
	s_waitcnt lgkmcnt(0)
	s_barrier
	ds_read_b128 v[15:18], v12
	v_and_b32_e32 v6, vcc_lo, v1
	v_and_b32_e32 v5, vcc_hi, v2
	v_bcnt_u32_b32 v6, v6, 0
	v_bcnt_u32_b32 v20, v5, v6
	ds_read_b96 v[5:7], v12 offset:16
	s_waitcnt lgkmcnt(1)
	v_cndmask_b32_e64 v15, v15, 0, s[6:7]
	v_add_u32_e32 v15, v15, v20
	v_cndmask_b32_e64 v16, v16, 0, s[8:9]
	v_cndmask_b32_e64 v17, v17, 0, s[10:11]
	v_add3_u32 v15, v15, v16, v17
	v_cndmask_b32_e64 v16, v18, 0, s[12:13]
	s_waitcnt lgkmcnt(0)
	v_cndmask_b32_e64 v5, v5, 0, s[14:15]
	v_add3_u32 v5, v15, v16, v5
	v_cndmask_b32_e64 v6, v6, 0, s[16:17]
	v_cndmask_b32_e64 v7, v7, 0, s[18:19]
	v_add3_u32 v5, v5, v6, v7
	v_and_b32_e32 v6, 1, v19
	v_cmp_eq_u32_e32 vcc, 1, v6
	s_and_saveexec_b64 s[24:25], vcc
	s_cbranch_execz .LBB23_62
; %bb.61:                               ;   in Loop: Header=BB23_60 Depth=2
	v_add_u32_e32 v6, v5, v13
	v_ashrrev_i32_e32 v7, 31, v6
	v_lshlrev_b64 v[6:7], 2, v[6:7]
	v_mov_b32_e32 v16, s41
	v_add_co_u32_e32 v6, vcc, s40, v6
	v_add_u32_e32 v15, v3, v4
	v_addc_co_u32_e32 v7, vcc, v16, v7, vcc
	global_store_dword v[6:7], v15, off offset:-4
.LBB23_62:                              ;   in Loop: Header=BB23_60 Depth=2
	s_or_b64 exec, exec, s[24:25]
	s_and_saveexec_b64 s[24:25], s[4:5]
	s_cbranch_execz .LBB23_59
; %bb.63:                               ;   in Loop: Header=BB23_60 Depth=2
	ds_write_b32 v12, v5 offset:28
	s_branch .LBB23_59
.LBB23_64:
	s_endpgm
	.section	.rodata,"a",@progbits
	.p2align	6, 0x0
	.amdhsa_kernel _ZN9rocsparseL45csrgemm_symbolic_fill_block_per_row_multipassILj512ELj16ELj2048ELj64EiiEEvT4_PKS1_S3_PKT3_S3_S6_S3_S6_S3_S6_PS1_PS4_21rocsparse_index_base_S9_S9_S9_bb
		.amdhsa_group_segment_fixed_size 10244
		.amdhsa_private_segment_fixed_size 0
		.amdhsa_kernarg_size 116
		.amdhsa_user_sgpr_count 6
		.amdhsa_user_sgpr_private_segment_buffer 1
		.amdhsa_user_sgpr_dispatch_ptr 0
		.amdhsa_user_sgpr_queue_ptr 0
		.amdhsa_user_sgpr_kernarg_segment_ptr 1
		.amdhsa_user_sgpr_dispatch_id 0
		.amdhsa_user_sgpr_flat_scratch_init 0
		.amdhsa_user_sgpr_private_segment_size 0
		.amdhsa_uses_dynamic_stack 0
		.amdhsa_system_sgpr_private_segment_wavefront_offset 0
		.amdhsa_system_sgpr_workgroup_id_x 1
		.amdhsa_system_sgpr_workgroup_id_y 0
		.amdhsa_system_sgpr_workgroup_id_z 0
		.amdhsa_system_sgpr_workgroup_info 0
		.amdhsa_system_vgpr_workitem_id 0
		.amdhsa_next_free_vgpr 22
		.amdhsa_next_free_sgpr 68
		.amdhsa_reserve_vcc 1
		.amdhsa_reserve_flat_scratch 0
		.amdhsa_float_round_mode_32 0
		.amdhsa_float_round_mode_16_64 0
		.amdhsa_float_denorm_mode_32 3
		.amdhsa_float_denorm_mode_16_64 3
		.amdhsa_dx10_clamp 1
		.amdhsa_ieee_mode 1
		.amdhsa_fp16_overflow 0
		.amdhsa_exception_fp_ieee_invalid_op 0
		.amdhsa_exception_fp_denorm_src 0
		.amdhsa_exception_fp_ieee_div_zero 0
		.amdhsa_exception_fp_ieee_overflow 0
		.amdhsa_exception_fp_ieee_underflow 0
		.amdhsa_exception_fp_ieee_inexact 0
		.amdhsa_exception_int_div_zero 0
	.end_amdhsa_kernel
	.section	.text._ZN9rocsparseL45csrgemm_symbolic_fill_block_per_row_multipassILj512ELj16ELj2048ELj64EiiEEvT4_PKS1_S3_PKT3_S3_S6_S3_S6_S3_S6_PS1_PS4_21rocsparse_index_base_S9_S9_S9_bb,"axG",@progbits,_ZN9rocsparseL45csrgemm_symbolic_fill_block_per_row_multipassILj512ELj16ELj2048ELj64EiiEEvT4_PKS1_S3_PKT3_S3_S6_S3_S6_S3_S6_PS1_PS4_21rocsparse_index_base_S9_S9_S9_bb,comdat
.Lfunc_end23:
	.size	_ZN9rocsparseL45csrgemm_symbolic_fill_block_per_row_multipassILj512ELj16ELj2048ELj64EiiEEvT4_PKS1_S3_PKT3_S3_S6_S3_S6_S3_S6_PS1_PS4_21rocsparse_index_base_S9_S9_S9_bb, .Lfunc_end23-_ZN9rocsparseL45csrgemm_symbolic_fill_block_per_row_multipassILj512ELj16ELj2048ELj64EiiEEvT4_PKS1_S3_PKT3_S3_S6_S3_S6_S3_S6_PS1_PS4_21rocsparse_index_base_S9_S9_S9_bb
                                        ; -- End function
	.set _ZN9rocsparseL45csrgemm_symbolic_fill_block_per_row_multipassILj512ELj16ELj2048ELj64EiiEEvT4_PKS1_S3_PKT3_S3_S6_S3_S6_S3_S6_PS1_PS4_21rocsparse_index_base_S9_S9_S9_bb.num_vgpr, 22
	.set _ZN9rocsparseL45csrgemm_symbolic_fill_block_per_row_multipassILj512ELj16ELj2048ELj64EiiEEvT4_PKS1_S3_PKT3_S3_S6_S3_S6_S3_S6_PS1_PS4_21rocsparse_index_base_S9_S9_S9_bb.num_agpr, 0
	.set _ZN9rocsparseL45csrgemm_symbolic_fill_block_per_row_multipassILj512ELj16ELj2048ELj64EiiEEvT4_PKS1_S3_PKT3_S3_S6_S3_S6_S3_S6_PS1_PS4_21rocsparse_index_base_S9_S9_S9_bb.numbered_sgpr, 68
	.set _ZN9rocsparseL45csrgemm_symbolic_fill_block_per_row_multipassILj512ELj16ELj2048ELj64EiiEEvT4_PKS1_S3_PKT3_S3_S6_S3_S6_S3_S6_PS1_PS4_21rocsparse_index_base_S9_S9_S9_bb.num_named_barrier, 0
	.set _ZN9rocsparseL45csrgemm_symbolic_fill_block_per_row_multipassILj512ELj16ELj2048ELj64EiiEEvT4_PKS1_S3_PKT3_S3_S6_S3_S6_S3_S6_PS1_PS4_21rocsparse_index_base_S9_S9_S9_bb.private_seg_size, 0
	.set _ZN9rocsparseL45csrgemm_symbolic_fill_block_per_row_multipassILj512ELj16ELj2048ELj64EiiEEvT4_PKS1_S3_PKT3_S3_S6_S3_S6_S3_S6_PS1_PS4_21rocsparse_index_base_S9_S9_S9_bb.uses_vcc, 1
	.set _ZN9rocsparseL45csrgemm_symbolic_fill_block_per_row_multipassILj512ELj16ELj2048ELj64EiiEEvT4_PKS1_S3_PKT3_S3_S6_S3_S6_S3_S6_PS1_PS4_21rocsparse_index_base_S9_S9_S9_bb.uses_flat_scratch, 0
	.set _ZN9rocsparseL45csrgemm_symbolic_fill_block_per_row_multipassILj512ELj16ELj2048ELj64EiiEEvT4_PKS1_S3_PKT3_S3_S6_S3_S6_S3_S6_PS1_PS4_21rocsparse_index_base_S9_S9_S9_bb.has_dyn_sized_stack, 0
	.set _ZN9rocsparseL45csrgemm_symbolic_fill_block_per_row_multipassILj512ELj16ELj2048ELj64EiiEEvT4_PKS1_S3_PKT3_S3_S6_S3_S6_S3_S6_PS1_PS4_21rocsparse_index_base_S9_S9_S9_bb.has_recursion, 0
	.set _ZN9rocsparseL45csrgemm_symbolic_fill_block_per_row_multipassILj512ELj16ELj2048ELj64EiiEEvT4_PKS1_S3_PKT3_S3_S6_S3_S6_S3_S6_PS1_PS4_21rocsparse_index_base_S9_S9_S9_bb.has_indirect_call, 0
	.section	.AMDGPU.csdata,"",@progbits
; Kernel info:
; codeLenInByte = 1992
; TotalNumSgprs: 72
; NumVgprs: 22
; ScratchSize: 0
; MemoryBound: 0
; FloatMode: 240
; IeeeMode: 1
; LDSByteSize: 10244 bytes/workgroup (compile time only)
; SGPRBlocks: 8
; VGPRBlocks: 5
; NumSGPRsForWavesPerEU: 72
; NumVGPRsForWavesPerEU: 22
; Occupancy: 10
; WaveLimiterHint : 1
; COMPUTE_PGM_RSRC2:SCRATCH_EN: 0
; COMPUTE_PGM_RSRC2:USER_SGPR: 6
; COMPUTE_PGM_RSRC2:TRAP_HANDLER: 0
; COMPUTE_PGM_RSRC2:TGID_X_EN: 1
; COMPUTE_PGM_RSRC2:TGID_Y_EN: 0
; COMPUTE_PGM_RSRC2:TGID_Z_EN: 0
; COMPUTE_PGM_RSRC2:TIDIG_COMP_CNT: 0
	.section	.text._ZN9rocsparseL34csrgemm_symbolic_max_row_nnz_part1ILj256EliEEvT1_PKT0_PS1_,"axG",@progbits,_ZN9rocsparseL34csrgemm_symbolic_max_row_nnz_part1ILj256EliEEvT1_PKT0_PS1_,comdat
	.globl	_ZN9rocsparseL34csrgemm_symbolic_max_row_nnz_part1ILj256EliEEvT1_PKT0_PS1_ ; -- Begin function _ZN9rocsparseL34csrgemm_symbolic_max_row_nnz_part1ILj256EliEEvT1_PKT0_PS1_
	.p2align	8
	.type	_ZN9rocsparseL34csrgemm_symbolic_max_row_nnz_part1ILj256EliEEvT1_PKT0_PS1_,@function
_ZN9rocsparseL34csrgemm_symbolic_max_row_nnz_part1ILj256EliEEvT1_PKT0_PS1_: ; @_ZN9rocsparseL34csrgemm_symbolic_max_row_nnz_part1ILj256EliEEvT1_PKT0_PS1_
; %bb.0:
	s_load_dword s7, s[4:5], 0x0
	s_load_dwordx2 s[0:1], s[4:5], 0x10
	v_lshl_or_b32 v1, s6, 8, v0
	v_mov_b32_e32 v3, 0
	s_waitcnt lgkmcnt(0)
	v_cmp_gt_i32_e32 vcc, s7, v1
	s_and_saveexec_b64 s[2:3], vcc
	s_cbranch_execz .LBB24_4
; %bb.1:
	s_load_dword s10, s[4:5], 0x18
	s_load_dwordx2 s[8:9], s[4:5], 0x8
	v_mov_b32_e32 v3, 0
	s_mov_b64 s[4:5], 0
	s_waitcnt lgkmcnt(0)
	s_lshl_b32 s10, s10, 8
	v_mov_b32_e32 v4, s9
.LBB24_2:                               ; =>This Inner Loop Header: Depth=1
	v_ashrrev_i32_e32 v2, 31, v1
	v_lshlrev_b64 v[5:6], 3, v[1:2]
	v_add_u32_e32 v1, s10, v1
	v_add_co_u32_e32 v5, vcc, s8, v5
	v_addc_co_u32_e32 v6, vcc, v4, v6, vcc
	global_load_dwordx4 v[5:8], v[5:6], off
	v_cmp_le_i32_e32 vcc, s7, v1
	s_or_b64 s[4:5], vcc, s[4:5]
	s_waitcnt vmcnt(0)
	v_sub_u32_e32 v2, v7, v5
	v_max_i32_e32 v3, v3, v2
	s_andn2_b64 exec, exec, s[4:5]
	s_cbranch_execnz .LBB24_2
; %bb.3:
	s_or_b64 exec, exec, s[4:5]
.LBB24_4:
	s_or_b64 exec, exec, s[2:3]
	s_movk_i32 s2, 0x80
	v_lshlrev_b32_e32 v1, 2, v0
	v_cmp_gt_u32_e32 vcc, s2, v0
	ds_write_b32 v1, v3
	s_waitcnt lgkmcnt(0)
	s_barrier
	s_and_saveexec_b64 s[2:3], vcc
	s_cbranch_execz .LBB24_6
; %bb.5:
	ds_read2st64_b32 v[2:3], v1 offset1:2
	s_waitcnt lgkmcnt(0)
	v_max_i32_e32 v2, v2, v3
	ds_write_b32 v1, v2
.LBB24_6:
	s_or_b64 exec, exec, s[2:3]
	v_cmp_gt_u32_e32 vcc, 64, v0
	s_waitcnt lgkmcnt(0)
	s_barrier
	s_and_saveexec_b64 s[2:3], vcc
	s_cbranch_execz .LBB24_8
; %bb.7:
	ds_read2st64_b32 v[2:3], v1 offset1:1
	s_waitcnt lgkmcnt(0)
	v_max_i32_e32 v2, v2, v3
	ds_write_b32 v1, v2
.LBB24_8:
	s_or_b64 exec, exec, s[2:3]
	v_cmp_gt_u32_e32 vcc, 32, v0
	s_waitcnt lgkmcnt(0)
	s_barrier
	s_and_saveexec_b64 s[2:3], vcc
	s_cbranch_execz .LBB24_10
; %bb.9:
	ds_read2_b32 v[2:3], v1 offset1:32
	s_waitcnt lgkmcnt(0)
	v_max_i32_e32 v2, v2, v3
	ds_write_b32 v1, v2
.LBB24_10:
	s_or_b64 exec, exec, s[2:3]
	v_cmp_gt_u32_e32 vcc, 16, v0
	s_waitcnt lgkmcnt(0)
	s_barrier
	s_and_saveexec_b64 s[2:3], vcc
	s_cbranch_execz .LBB24_12
; %bb.11:
	ds_read2_b32 v[2:3], v1 offset1:16
	s_waitcnt lgkmcnt(0)
	v_max_i32_e32 v2, v2, v3
	ds_write_b32 v1, v2
.LBB24_12:
	;; [unrolled: 12-line block ×5, first 2 shown]
	s_or_b64 exec, exec, s[2:3]
	v_cmp_eq_u32_e32 vcc, 0, v0
	s_waitcnt lgkmcnt(0)
	s_barrier
	s_and_saveexec_b64 s[2:3], vcc
	s_cbranch_execz .LBB24_20
; %bb.19:
	v_mov_b32_e32 v2, 0
	ds_read_b64 v[0:1], v2
	s_waitcnt lgkmcnt(0)
	v_max_i32_e32 v0, v0, v1
	ds_write_b32 v2, v0
.LBB24_20:
	s_or_b64 exec, exec, s[2:3]
	s_waitcnt lgkmcnt(0)
	s_barrier
	s_and_saveexec_b64 s[2:3], vcc
	s_cbranch_execz .LBB24_22
; %bb.21:
	v_mov_b32_e32 v0, 0
	ds_read_b32 v1, v0
	s_mov_b32 s7, 0
	s_lshl_b64 s[2:3], s[6:7], 2
	s_add_u32 s0, s0, s2
	s_addc_u32 s1, s1, s3
	s_waitcnt lgkmcnt(0)
	global_store_dword v0, v1, s[0:1]
.LBB24_22:
	s_endpgm
	.section	.rodata,"a",@progbits
	.p2align	6, 0x0
	.amdhsa_kernel _ZN9rocsparseL34csrgemm_symbolic_max_row_nnz_part1ILj256EliEEvT1_PKT0_PS1_
		.amdhsa_group_segment_fixed_size 1024
		.amdhsa_private_segment_fixed_size 0
		.amdhsa_kernarg_size 280
		.amdhsa_user_sgpr_count 6
		.amdhsa_user_sgpr_private_segment_buffer 1
		.amdhsa_user_sgpr_dispatch_ptr 0
		.amdhsa_user_sgpr_queue_ptr 0
		.amdhsa_user_sgpr_kernarg_segment_ptr 1
		.amdhsa_user_sgpr_dispatch_id 0
		.amdhsa_user_sgpr_flat_scratch_init 0
		.amdhsa_user_sgpr_private_segment_size 0
		.amdhsa_uses_dynamic_stack 0
		.amdhsa_system_sgpr_private_segment_wavefront_offset 0
		.amdhsa_system_sgpr_workgroup_id_x 1
		.amdhsa_system_sgpr_workgroup_id_y 0
		.amdhsa_system_sgpr_workgroup_id_z 0
		.amdhsa_system_sgpr_workgroup_info 0
		.amdhsa_system_vgpr_workitem_id 0
		.amdhsa_next_free_vgpr 9
		.amdhsa_next_free_sgpr 11
		.amdhsa_reserve_vcc 1
		.amdhsa_reserve_flat_scratch 0
		.amdhsa_float_round_mode_32 0
		.amdhsa_float_round_mode_16_64 0
		.amdhsa_float_denorm_mode_32 3
		.amdhsa_float_denorm_mode_16_64 3
		.amdhsa_dx10_clamp 1
		.amdhsa_ieee_mode 1
		.amdhsa_fp16_overflow 0
		.amdhsa_exception_fp_ieee_invalid_op 0
		.amdhsa_exception_fp_denorm_src 0
		.amdhsa_exception_fp_ieee_div_zero 0
		.amdhsa_exception_fp_ieee_overflow 0
		.amdhsa_exception_fp_ieee_underflow 0
		.amdhsa_exception_fp_ieee_inexact 0
		.amdhsa_exception_int_div_zero 0
	.end_amdhsa_kernel
	.section	.text._ZN9rocsparseL34csrgemm_symbolic_max_row_nnz_part1ILj256EliEEvT1_PKT0_PS1_,"axG",@progbits,_ZN9rocsparseL34csrgemm_symbolic_max_row_nnz_part1ILj256EliEEvT1_PKT0_PS1_,comdat
.Lfunc_end24:
	.size	_ZN9rocsparseL34csrgemm_symbolic_max_row_nnz_part1ILj256EliEEvT1_PKT0_PS1_, .Lfunc_end24-_ZN9rocsparseL34csrgemm_symbolic_max_row_nnz_part1ILj256EliEEvT1_PKT0_PS1_
                                        ; -- End function
	.set _ZN9rocsparseL34csrgemm_symbolic_max_row_nnz_part1ILj256EliEEvT1_PKT0_PS1_.num_vgpr, 9
	.set _ZN9rocsparseL34csrgemm_symbolic_max_row_nnz_part1ILj256EliEEvT1_PKT0_PS1_.num_agpr, 0
	.set _ZN9rocsparseL34csrgemm_symbolic_max_row_nnz_part1ILj256EliEEvT1_PKT0_PS1_.numbered_sgpr, 11
	.set _ZN9rocsparseL34csrgemm_symbolic_max_row_nnz_part1ILj256EliEEvT1_PKT0_PS1_.num_named_barrier, 0
	.set _ZN9rocsparseL34csrgemm_symbolic_max_row_nnz_part1ILj256EliEEvT1_PKT0_PS1_.private_seg_size, 0
	.set _ZN9rocsparseL34csrgemm_symbolic_max_row_nnz_part1ILj256EliEEvT1_PKT0_PS1_.uses_vcc, 1
	.set _ZN9rocsparseL34csrgemm_symbolic_max_row_nnz_part1ILj256EliEEvT1_PKT0_PS1_.uses_flat_scratch, 0
	.set _ZN9rocsparseL34csrgemm_symbolic_max_row_nnz_part1ILj256EliEEvT1_PKT0_PS1_.has_dyn_sized_stack, 0
	.set _ZN9rocsparseL34csrgemm_symbolic_max_row_nnz_part1ILj256EliEEvT1_PKT0_PS1_.has_recursion, 0
	.set _ZN9rocsparseL34csrgemm_symbolic_max_row_nnz_part1ILj256EliEEvT1_PKT0_PS1_.has_indirect_call, 0
	.section	.AMDGPU.csdata,"",@progbits
; Kernel info:
; codeLenInByte = 612
; TotalNumSgprs: 15
; NumVgprs: 9
; ScratchSize: 0
; MemoryBound: 0
; FloatMode: 240
; IeeeMode: 1
; LDSByteSize: 1024 bytes/workgroup (compile time only)
; SGPRBlocks: 1
; VGPRBlocks: 2
; NumSGPRsForWavesPerEU: 15
; NumVGPRsForWavesPerEU: 9
; Occupancy: 10
; WaveLimiterHint : 0
; COMPUTE_PGM_RSRC2:SCRATCH_EN: 0
; COMPUTE_PGM_RSRC2:USER_SGPR: 6
; COMPUTE_PGM_RSRC2:TRAP_HANDLER: 0
; COMPUTE_PGM_RSRC2:TGID_X_EN: 1
; COMPUTE_PGM_RSRC2:TGID_Y_EN: 0
; COMPUTE_PGM_RSRC2:TGID_Z_EN: 0
; COMPUTE_PGM_RSRC2:TIDIG_COMP_CNT: 0
	.section	.text._ZN9rocsparseL35csrgemm_symbolic_group_reduce_part2ILj256ELj11EliEEvT2_PKT1_PS1_Pij,"axG",@progbits,_ZN9rocsparseL35csrgemm_symbolic_group_reduce_part2ILj256ELj11EliEEvT2_PKT1_PS1_Pij,comdat
	.globl	_ZN9rocsparseL35csrgemm_symbolic_group_reduce_part2ILj256ELj11EliEEvT2_PKT1_PS1_Pij ; -- Begin function _ZN9rocsparseL35csrgemm_symbolic_group_reduce_part2ILj256ELj11EliEEvT2_PKT1_PS1_Pij
	.p2align	8
	.type	_ZN9rocsparseL35csrgemm_symbolic_group_reduce_part2ILj256ELj11EliEEvT2_PKT1_PS1_Pij,@function
_ZN9rocsparseL35csrgemm_symbolic_group_reduce_part2ILj256ELj11EliEEvT2_PKT1_PS1_Pij: ; @_ZN9rocsparseL35csrgemm_symbolic_group_reduce_part2ILj256ELj11EliEEvT2_PKT1_PS1_Pij
; %bb.0:
	s_load_dword s7, s[4:5], 0x0
	s_load_dwordx2 s[0:1], s[4:5], 0x10
	v_lshl_or_b32 v1, s6, 8, v0
	v_mul_u32_u24_e32 v5, 44, v0
	v_mov_b32_e32 v6, 0
	s_waitcnt lgkmcnt(0)
	v_cmp_gt_i32_e32 vcc, s7, v1
	ds_write2_b32 v5, v6, v6 offset1:1
	ds_write2_b32 v5, v6, v6 offset0:2 offset1:3
	ds_write2_b32 v5, v6, v6 offset0:4 offset1:5
	;; [unrolled: 1-line block ×4, first 2 shown]
	ds_write_b32 v5, v6 offset:40
	s_waitcnt lgkmcnt(0)
	s_and_saveexec_b64 s[2:3], vcc
	s_cbranch_execz .LBB25_43
; %bb.1:
	s_load_dword s12, s[4:5], 0x20
	s_load_dwordx2 s[8:9], s[4:5], 0x8
	s_load_dwordx2 s[10:11], s[4:5], 0x18
	s_load_dword s13, s[4:5], 0x28
	s_mov_b64 s[4:5], 0
	s_waitcnt lgkmcnt(0)
	s_cmpk_lt_u32 s12, 0x4084
	s_cselect_b64 s[22:23], -1, 0
	s_cmpk_lt_u32 s12, 0x8084
	s_cselect_b64 s[26:27], -1, 0
	s_cmp_lt_u32 s12, 0x10084
	s_cselect_b64 s[30:31], -1, 0
	s_cmp_lt_u32 s12, 0x20084
	s_cselect_b64 s[36:37], -1, 0
	s_lshl_b32 s33, s13, 8
	v_mov_b32_e32 v7, s9
	s_mov_b64 s[12:13], 0x100
	s_mov_b64 s[14:15], 0x200
	;; [unrolled: 1-line block ×5, first 2 shown]
	s_xor_b64 s[22:23], s[22:23], -1
	v_mov_b32_e32 v8, 6
	s_mov_b64 s[24:25], 0x2001
	s_xor_b64 s[26:27], s[26:27], -1
	v_mov_b32_e32 v9, 7
	s_mov_b64 s[28:29], 0x4001
	;; [unrolled: 3-line block ×3, first 2 shown]
	s_xor_b64 s[36:37], s[36:37], -1
	v_mov_b32_e32 v11, 9
	v_mov_b32_e32 v12, 10
	v_mov_b32_e32 v13, 5
	v_mov_b32_e32 v14, 4
	v_mov_b32_e32 v15, 3
	v_mov_b32_e32 v16, 2
	v_mov_b32_e32 v17, 1
	s_branch .LBB25_3
.LBB25_2:                               ;   in Loop: Header=BB25_3 Depth=1
	s_or_b64 exec, exec, s[38:39]
	v_add_u32_e32 v1, s33, v1
	v_cmp_le_i32_e32 vcc, s7, v1
	s_or_b64 s[4:5], vcc, s[4:5]
	s_andn2_b64 exec, exec, s[4:5]
	s_cbranch_execz .LBB25_43
.LBB25_3:                               ; =>This Inner Loop Header: Depth=1
	v_ashrrev_i32_e32 v2, 31, v1
	v_lshlrev_b64 v[3:4], 3, v[1:2]
	v_add_co_u32_e32 v3, vcc, s8, v3
	v_addc_co_u32_e32 v4, vcc, v7, v4, vcc
	global_load_dwordx4 v[18:21], v[3:4], off
	s_waitcnt vmcnt(0)
	v_sub_co_u32_e32 v3, vcc, v20, v18
	v_subb_co_u32_e32 v4, vcc, v21, v19, vcc
	v_cmp_lt_i64_e32 vcc, 16, v[3:4]
	s_and_saveexec_b64 s[38:39], vcc
	s_xor_b64 s[38:39], exec, s[38:39]
	s_cbranch_execz .LBB25_41
; %bb.4:                                ;   in Loop: Header=BB25_3 Depth=1
	v_cmp_lt_u64_e32 vcc, 32, v[3:4]
	s_and_saveexec_b64 s[40:41], vcc
	s_xor_b64 s[40:41], exec, s[40:41]
	s_cbranch_execz .LBB25_38
; %bb.5:                                ;   in Loop: Header=BB25_3 Depth=1
	v_cmp_lt_u64_e32 vcc, s[12:13], v[3:4]
	;; [unrolled: 5-line block ×5, first 2 shown]
	s_and_saveexec_b64 s[48:49], vcc
	s_xor_b64 s[48:49], exec, s[48:49]
	s_cbranch_execz .LBB25_26
; %bb.9:                                ;   in Loop: Header=BB25_3 Depth=1
	v_cmp_gt_u64_e32 vcc, s[20:21], v[3:4]
	s_and_b64 s[50:51], s[22:23], vcc
	s_and_saveexec_b64 s[52:53], s[50:51]
	s_xor_b64 s[50:51], exec, s[52:53]
	s_cbranch_execz .LBB25_11
; %bb.10:                               ;   in Loop: Header=BB25_3 Depth=1
	ds_read_b32 v18, v5 offset:24
	v_lshlrev_b64 v[3:4], 2, v[1:2]
	v_mov_b32_e32 v19, s11
	v_add_co_u32_e32 v3, vcc, s10, v3
	s_waitcnt lgkmcnt(0)
	v_add_u32_e32 v18, 1, v18
	v_addc_co_u32_e32 v4, vcc, v19, v4, vcc
	ds_write_b32 v5, v18 offset:24
	global_store_dword v[3:4], v8, off
                                        ; implicit-def: $vgpr3_vgpr4
.LBB25_11:                              ;   in Loop: Header=BB25_3 Depth=1
	s_andn2_saveexec_b64 s[50:51], s[50:51]
	s_cbranch_execz .LBB25_25
; %bb.12:                               ;   in Loop: Header=BB25_3 Depth=1
	v_cmp_gt_u64_e32 vcc, s[24:25], v[3:4]
	s_and_b64 s[52:53], s[26:27], vcc
	s_and_saveexec_b64 s[54:55], s[52:53]
	s_xor_b64 s[52:53], exec, s[54:55]
	s_cbranch_execz .LBB25_14
; %bb.13:                               ;   in Loop: Header=BB25_3 Depth=1
	ds_read_b32 v18, v5 offset:28
	v_lshlrev_b64 v[3:4], 2, v[1:2]
	v_mov_b32_e32 v19, s11
	v_add_co_u32_e32 v3, vcc, s10, v3
	s_waitcnt lgkmcnt(0)
	v_add_u32_e32 v18, 1, v18
	v_addc_co_u32_e32 v4, vcc, v19, v4, vcc
	ds_write_b32 v5, v18 offset:28
	global_store_dword v[3:4], v9, off
                                        ; implicit-def: $vgpr3_vgpr4
.LBB25_14:                              ;   in Loop: Header=BB25_3 Depth=1
	s_andn2_saveexec_b64 s[52:53], s[52:53]
	s_cbranch_execz .LBB25_24
; %bb.15:                               ;   in Loop: Header=BB25_3 Depth=1
	;; [unrolled: 20-line block ×3, first 2 shown]
	v_cmp_gt_u64_e32 vcc, s[34:35], v[3:4]
	v_lshlrev_b64 v[3:4], 2, v[1:2]
	s_and_b64 s[56:57], s[36:37], vcc
	v_mov_b32_e32 v18, s11
	v_add_co_u32_e32 v3, vcc, s10, v3
	v_addc_co_u32_e32 v4, vcc, v18, v4, vcc
	s_and_saveexec_b64 s[58:59], s[56:57]
	s_xor_b64 s[56:57], exec, s[58:59]
	s_cbranch_execz .LBB25_20
; %bb.19:                               ;   in Loop: Header=BB25_3 Depth=1
	ds_read_b32 v18, v5 offset:36
	global_store_dword v[3:4], v11, off
                                        ; implicit-def: $vgpr3_vgpr4
	s_waitcnt lgkmcnt(0)
	v_add_u32_e32 v18, 1, v18
	ds_write_b32 v5, v18 offset:36
.LBB25_20:                              ;   in Loop: Header=BB25_3 Depth=1
	s_andn2_saveexec_b64 s[56:57], s[56:57]
	s_cbranch_execz .LBB25_22
; %bb.21:                               ;   in Loop: Header=BB25_3 Depth=1
	ds_read_b32 v18, v5 offset:40
	global_store_dword v[3:4], v12, off
	s_waitcnt lgkmcnt(0)
	v_add_u32_e32 v18, 1, v18
	ds_write_b32 v5, v18 offset:40
.LBB25_22:                              ;   in Loop: Header=BB25_3 Depth=1
	s_or_b64 exec, exec, s[56:57]
.LBB25_23:                              ;   in Loop: Header=BB25_3 Depth=1
	s_or_b64 exec, exec, s[54:55]
.LBB25_24:                              ;   in Loop: Header=BB25_3 Depth=1
	s_or_b64 exec, exec, s[52:53]
.LBB25_25:                              ;   in Loop: Header=BB25_3 Depth=1
	s_or_b64 exec, exec, s[50:51]
.LBB25_26:                              ;   in Loop: Header=BB25_3 Depth=1
	s_andn2_saveexec_b64 s[48:49], s[48:49]
	s_cbranch_execz .LBB25_28
; %bb.27:                               ;   in Loop: Header=BB25_3 Depth=1
	ds_read_b32 v18, v5 offset:20
	v_lshlrev_b64 v[3:4], 2, v[1:2]
	v_mov_b32_e32 v19, s11
	v_add_co_u32_e32 v3, vcc, s10, v3
	s_waitcnt lgkmcnt(0)
	v_add_u32_e32 v18, 1, v18
	v_addc_co_u32_e32 v4, vcc, v19, v4, vcc
	ds_write_b32 v5, v18 offset:20
	global_store_dword v[3:4], v13, off
.LBB25_28:                              ;   in Loop: Header=BB25_3 Depth=1
	s_or_b64 exec, exec, s[48:49]
.LBB25_29:                              ;   in Loop: Header=BB25_3 Depth=1
	s_andn2_saveexec_b64 s[46:47], s[46:47]
	s_cbranch_execz .LBB25_31
; %bb.30:                               ;   in Loop: Header=BB25_3 Depth=1
	ds_read_b32 v18, v5 offset:16
	v_lshlrev_b64 v[3:4], 2, v[1:2]
	v_mov_b32_e32 v19, s11
	v_add_co_u32_e32 v3, vcc, s10, v3
	s_waitcnt lgkmcnt(0)
	v_add_u32_e32 v18, 1, v18
	v_addc_co_u32_e32 v4, vcc, v19, v4, vcc
	ds_write_b32 v5, v18 offset:16
	global_store_dword v[3:4], v14, off
.LBB25_31:                              ;   in Loop: Header=BB25_3 Depth=1
	s_or_b64 exec, exec, s[46:47]
.LBB25_32:                              ;   in Loop: Header=BB25_3 Depth=1
	s_andn2_saveexec_b64 s[44:45], s[44:45]
	s_cbranch_execz .LBB25_34
; %bb.33:                               ;   in Loop: Header=BB25_3 Depth=1
	ds_read_b32 v18, v5 offset:12
	v_lshlrev_b64 v[3:4], 2, v[1:2]
	v_mov_b32_e32 v19, s11
	v_add_co_u32_e32 v3, vcc, s10, v3
	s_waitcnt lgkmcnt(0)
	v_add_u32_e32 v18, 1, v18
	v_addc_co_u32_e32 v4, vcc, v19, v4, vcc
	ds_write_b32 v5, v18 offset:12
	global_store_dword v[3:4], v15, off
.LBB25_34:                              ;   in Loop: Header=BB25_3 Depth=1
	s_or_b64 exec, exec, s[44:45]
.LBB25_35:                              ;   in Loop: Header=BB25_3 Depth=1
	s_andn2_saveexec_b64 s[42:43], s[42:43]
	s_cbranch_execz .LBB25_37
; %bb.36:                               ;   in Loop: Header=BB25_3 Depth=1
	ds_read_b32 v18, v5 offset:8
	v_lshlrev_b64 v[3:4], 2, v[1:2]
	v_mov_b32_e32 v19, s11
	v_add_co_u32_e32 v3, vcc, s10, v3
	s_waitcnt lgkmcnt(0)
	v_add_u32_e32 v18, 1, v18
	v_addc_co_u32_e32 v4, vcc, v19, v4, vcc
	ds_write_b32 v5, v18 offset:8
	global_store_dword v[3:4], v16, off
.LBB25_37:                              ;   in Loop: Header=BB25_3 Depth=1
	s_or_b64 exec, exec, s[42:43]
.LBB25_38:                              ;   in Loop: Header=BB25_3 Depth=1
	s_andn2_saveexec_b64 s[40:41], s[40:41]
	s_cbranch_execz .LBB25_40
; %bb.39:                               ;   in Loop: Header=BB25_3 Depth=1
	ds_read_b32 v18, v5 offset:4
	v_lshlrev_b64 v[3:4], 2, v[1:2]
	v_mov_b32_e32 v19, s11
	v_add_co_u32_e32 v3, vcc, s10, v3
	s_waitcnt lgkmcnt(0)
	v_add_u32_e32 v18, 1, v18
	v_addc_co_u32_e32 v4, vcc, v19, v4, vcc
	ds_write_b32 v5, v18 offset:4
	global_store_dword v[3:4], v17, off
.LBB25_40:                              ;   in Loop: Header=BB25_3 Depth=1
	s_or_b64 exec, exec, s[40:41]
.LBB25_41:                              ;   in Loop: Header=BB25_3 Depth=1
	s_andn2_saveexec_b64 s[38:39], s[38:39]
	s_cbranch_execz .LBB25_2
; %bb.42:                               ;   in Loop: Header=BB25_3 Depth=1
	ds_read_b32 v4, v5
	v_lshlrev_b64 v[2:3], 2, v[1:2]
	v_mov_b32_e32 v18, s11
	v_add_co_u32_e32 v2, vcc, s10, v2
	s_waitcnt lgkmcnt(0)
	v_add_u32_e32 v4, 1, v4
	v_addc_co_u32_e32 v3, vcc, v18, v3, vcc
	ds_write_b32 v5, v4
	global_store_dword v[2:3], v6, off
	s_branch .LBB25_2
.LBB25_43:
	s_or_b64 exec, exec, s[2:3]
	s_movk_i32 s2, 0x80
	v_cmp_gt_u32_e32 vcc, s2, v0
	s_waitcnt vmcnt(0) lgkmcnt(0)
	s_barrier
	s_barrier
	;; [unrolled: 1-line block ×3, first 2 shown]
	s_and_saveexec_b64 s[2:3], vcc
	s_cbranch_execz .LBB25_45
; %bb.44:
	v_add_u32_e32 v1, 0x1600, v5
	ds_read2_b32 v[1:2], v1 offset1:1
	v_add_u32_e32 v12, 0x1608, v5
	v_add_u32_e32 v14, 0x1610, v5
	ds_read2_b32 v[3:4], v5 offset1:1
	ds_read2_b32 v[6:7], v5 offset0:2 offset1:3
	ds_read2_b32 v[8:9], v5 offset0:4 offset1:5
	;; [unrolled: 1-line block ×3, first 2 shown]
	ds_read2_b32 v[12:13], v12 offset1:1
	ds_read2_b32 v[14:15], v14 offset1:1
	ds_read2_b32 v[16:17], v5 offset0:8 offset1:9
	s_waitcnt lgkmcnt(6)
	v_add_u32_e32 v1, v3, v1
	v_add_u32_e32 v2, v4, v2
	ds_write2_b32 v5, v1, v2 offset1:1
	s_waitcnt lgkmcnt(3)
	v_add_u32_e32 v1, v6, v12
	v_add_u32_e32 v2, v7, v13
	ds_write2_b32 v5, v1, v2 offset0:2 offset1:3
	v_add_u32_e32 v1, 0x1618, v5
	ds_read2_b32 v[1:2], v1 offset1:1
	s_waitcnt lgkmcnt(4)
	v_add_u32_e32 v3, v8, v14
	v_add_u32_e32 v4, v9, v15
	ds_write2_b32 v5, v3, v4 offset0:4 offset1:5
	v_add_u32_e32 v3, 0x1620, v5
	ds_read2_b32 v[3:4], v3 offset1:1
	s_waitcnt lgkmcnt(2)
	v_add_u32_e32 v6, v10, v1
	v_add_u32_e32 v1, 40, v5
	;; [unrolled: 1-line block ×3, first 2 shown]
	ds_read2st64_b32 v[1:2], v1 offset1:22
	s_waitcnt lgkmcnt(1)
	v_add_u32_e32 v3, v16, v3
	v_add_u32_e32 v4, v17, v4
	ds_write2_b32 v5, v6, v7 offset0:6 offset1:7
	ds_write2_b32 v5, v3, v4 offset0:8 offset1:9
	s_waitcnt lgkmcnt(2)
	v_add_u32_e32 v1, v1, v2
	ds_write_b32 v5, v1 offset:40
.LBB25_45:
	s_or_b64 exec, exec, s[2:3]
	v_cmp_gt_u32_e32 vcc, 64, v0
	s_waitcnt lgkmcnt(0)
	s_barrier
	s_and_saveexec_b64 s[2:3], vcc
	s_cbranch_execz .LBB25_47
; %bb.46:
	v_add_u32_e32 v1, 0xb00, v5
	ds_read2_b32 v[1:2], v1 offset1:1
	v_add_u32_e32 v12, 0xb08, v5
	v_add_u32_e32 v14, 0xb10, v5
	ds_read2_b32 v[3:4], v5 offset1:1
	ds_read2_b32 v[6:7], v5 offset0:2 offset1:3
	ds_read2_b32 v[8:9], v5 offset0:4 offset1:5
	;; [unrolled: 1-line block ×3, first 2 shown]
	ds_read2_b32 v[12:13], v12 offset1:1
	ds_read2_b32 v[14:15], v14 offset1:1
	ds_read2_b32 v[16:17], v5 offset0:8 offset1:9
	s_waitcnt lgkmcnt(6)
	v_add_u32_e32 v1, v3, v1
	v_add_u32_e32 v2, v4, v2
	ds_write2_b32 v5, v1, v2 offset1:1
	s_waitcnt lgkmcnt(3)
	v_add_u32_e32 v1, v6, v12
	v_add_u32_e32 v2, v7, v13
	ds_write2_b32 v5, v1, v2 offset0:2 offset1:3
	v_add_u32_e32 v1, 0xb18, v5
	ds_read2_b32 v[1:2], v1 offset1:1
	s_waitcnt lgkmcnt(4)
	v_add_u32_e32 v3, v8, v14
	v_add_u32_e32 v4, v9, v15
	ds_write2_b32 v5, v3, v4 offset0:4 offset1:5
	v_add_u32_e32 v3, 0xb20, v5
	ds_read2_b32 v[3:4], v3 offset1:1
	s_waitcnt lgkmcnt(2)
	v_add_u32_e32 v6, v10, v1
	v_add_u32_e32 v1, 40, v5
	;; [unrolled: 1-line block ×3, first 2 shown]
	ds_read2st64_b32 v[1:2], v1 offset1:11
	s_waitcnt lgkmcnt(1)
	v_add_u32_e32 v3, v16, v3
	v_add_u32_e32 v4, v17, v4
	ds_write2_b32 v5, v6, v7 offset0:6 offset1:7
	ds_write2_b32 v5, v3, v4 offset0:8 offset1:9
	s_waitcnt lgkmcnt(2)
	v_add_u32_e32 v1, v1, v2
	ds_write_b32 v5, v1 offset:40
.LBB25_47:
	s_or_b64 exec, exec, s[2:3]
	v_cmp_gt_u32_e32 vcc, 32, v0
	s_waitcnt lgkmcnt(0)
	s_barrier
	s_and_saveexec_b64 s[2:3], vcc
	s_cbranch_execz .LBB25_49
; %bb.48:
	v_add_u32_e32 v1, 0x580, v5
	ds_read2_b32 v[1:2], v1 offset1:1
	ds_read2_b32 v[3:4], v5 offset1:1
	ds_read2_b32 v[6:7], v5 offset0:2 offset1:3
	ds_read2_b32 v[8:9], v5 offset0:4 offset1:5
	;; [unrolled: 1-line block ×3, first 2 shown]
	ds_read_b32 v16, v5 offset:1448
	s_waitcnt lgkmcnt(4)
	v_add_u32_e32 v1, v3, v1
	v_add_u32_e32 v2, v4, v2
	ds_write2_b32 v5, v1, v2 offset1:1
	v_add_u32_e32 v1, 0x588, v5
	ds_read2_b32 v[1:2], v1 offset1:1
	v_add_u32_e32 v3, 0x590, v5
	v_add_u32_e32 v12, 0x598, v5
	;; [unrolled: 1-line block ×3, first 2 shown]
	ds_read2_b32 v[3:4], v3 offset1:1
	ds_read2_b32 v[12:13], v12 offset1:1
	;; [unrolled: 1-line block ×3, first 2 shown]
	s_waitcnt lgkmcnt(3)
	v_add_u32_e32 v1, v6, v1
	v_add_u32_e32 v2, v7, v2
	ds_write2_b32 v5, v1, v2 offset0:2 offset1:3
	s_waitcnt lgkmcnt(3)
	v_add_u32_e32 v1, v8, v3
	v_add_u32_e32 v2, v9, v4
	ds_write2_b32 v5, v1, v2 offset0:4 offset1:5
	ds_read2_b32 v[1:2], v5 offset0:8 offset1:9
	ds_read_b32 v6, v5 offset:40
	s_waitcnt lgkmcnt(5)
	v_add_u32_e32 v3, v10, v12
	v_add_u32_e32 v4, v11, v13
	ds_write2_b32 v5, v3, v4 offset0:6 offset1:7
	s_waitcnt lgkmcnt(2)
	v_add_u32_e32 v1, v1, v14
	v_add_u32_e32 v2, v2, v15
	ds_write2_b32 v5, v1, v2 offset0:8 offset1:9
	s_waitcnt lgkmcnt(2)
	v_add_u32_e32 v1, v6, v16
	ds_write_b32 v5, v1 offset:40
.LBB25_49:
	s_or_b64 exec, exec, s[2:3]
	v_cmp_gt_u32_e32 vcc, 16, v0
	s_waitcnt lgkmcnt(0)
	s_barrier
	s_and_saveexec_b64 s[2:3], vcc
	s_cbranch_execz .LBB25_51
; %bb.50:
	ds_read2_b32 v[1:2], v5 offset0:176 offset1:177
	ds_read2_b32 v[3:4], v5 offset1:1
	ds_read2_b32 v[6:7], v5 offset0:2 offset1:3
	ds_read2_b32 v[8:9], v5 offset0:4 offset1:5
	ds_read2_b32 v[10:11], v5 offset0:6 offset1:7
	ds_read2_b32 v[12:13], v5 offset0:178 offset1:179
	ds_read2_b32 v[14:15], v5 offset0:180 offset1:181
	ds_read2_b32 v[16:17], v5 offset0:8 offset1:9
	s_waitcnt lgkmcnt(6)
	v_add_u32_e32 v1, v3, v1
	v_add_u32_e32 v2, v4, v2
	ds_write2_b32 v5, v1, v2 offset1:1
	s_waitcnt lgkmcnt(3)
	v_add_u32_e32 v1, v6, v12
	v_add_u32_e32 v2, v7, v13
	ds_write2_b32 v5, v1, v2 offset0:2 offset1:3
	ds_read2_b32 v[1:2], v5 offset0:182 offset1:183
	s_waitcnt lgkmcnt(4)
	v_add_u32_e32 v3, v8, v14
	v_add_u32_e32 v4, v9, v15
	ds_write2_b32 v5, v3, v4 offset0:4 offset1:5
	ds_read2_b32 v[3:4], v5 offset0:184 offset1:185
	s_waitcnt lgkmcnt(2)
	v_add_u32_e32 v6, v10, v1
	v_add_u32_e32 v7, v11, v2
	ds_read2_b32 v[1:2], v5 offset0:10 offset1:186
	ds_write2_b32 v5, v6, v7 offset0:6 offset1:7
	s_waitcnt lgkmcnt(2)
	v_add_u32_e32 v3, v16, v3
	v_add_u32_e32 v4, v17, v4
	ds_write2_b32 v5, v3, v4 offset0:8 offset1:9
	s_waitcnt lgkmcnt(2)
	v_add_u32_e32 v1, v1, v2
	ds_write_b32 v5, v1 offset:40
.LBB25_51:
	s_or_b64 exec, exec, s[2:3]
	v_cmp_gt_u32_e32 vcc, 8, v0
	s_waitcnt lgkmcnt(0)
	s_barrier
	s_and_saveexec_b64 s[2:3], vcc
	s_cbranch_execz .LBB25_53
; %bb.52:
	ds_read2_b32 v[1:2], v5 offset0:88 offset1:89
	ds_read2_b32 v[3:4], v5 offset1:1
	ds_read2_b32 v[6:7], v5 offset0:2 offset1:3
	ds_read2_b32 v[8:9], v5 offset0:4 offset1:5
	ds_read2_b32 v[10:11], v5 offset0:6 offset1:7
	ds_read2_b32 v[12:13], v5 offset0:90 offset1:91
	ds_read2_b32 v[14:15], v5 offset0:92 offset1:93
	ds_read2_b32 v[16:17], v5 offset0:8 offset1:9
	s_waitcnt lgkmcnt(6)
	v_add_u32_e32 v1, v3, v1
	v_add_u32_e32 v2, v4, v2
	ds_write2_b32 v5, v1, v2 offset1:1
	s_waitcnt lgkmcnt(3)
	v_add_u32_e32 v1, v6, v12
	v_add_u32_e32 v2, v7, v13
	ds_write2_b32 v5, v1, v2 offset0:2 offset1:3
	ds_read2_b32 v[1:2], v5 offset0:94 offset1:95
	s_waitcnt lgkmcnt(4)
	v_add_u32_e32 v3, v8, v14
	v_add_u32_e32 v4, v9, v15
	ds_write2_b32 v5, v3, v4 offset0:4 offset1:5
	ds_read2_b32 v[3:4], v5 offset0:96 offset1:97
	s_waitcnt lgkmcnt(2)
	v_add_u32_e32 v6, v10, v1
	v_add_u32_e32 v7, v11, v2
	ds_read2_b32 v[1:2], v5 offset0:10 offset1:98
	ds_write2_b32 v5, v6, v7 offset0:6 offset1:7
	s_waitcnt lgkmcnt(2)
	v_add_u32_e32 v3, v16, v3
	v_add_u32_e32 v4, v17, v4
	ds_write2_b32 v5, v3, v4 offset0:8 offset1:9
	s_waitcnt lgkmcnt(2)
	v_add_u32_e32 v1, v1, v2
	ds_write_b32 v5, v1 offset:40
.LBB25_53:
	;; [unrolled: 42-line block ×4, first 2 shown]
	s_or_b64 exec, exec, s[2:3]
	v_cmp_eq_u32_e32 vcc, 0, v0
	s_waitcnt lgkmcnt(0)
	s_barrier
	s_and_saveexec_b64 s[2:3], vcc
	s_cbranch_execz .LBB25_59
; %bb.58:
	v_mov_b32_e32 v21, 0
	ds_read_b128 v[1:4], v21
	ds_read_b128 v[5:8], v21 offset:32
	ds_read_b128 v[9:12], v21 offset:48
	;; [unrolled: 1-line block ×4, first 2 shown]
	s_waitcnt lgkmcnt(3)
	v_add_u32_e32 v1, v1, v8
	s_waitcnt lgkmcnt(2)
	v_add_u32_e32 v2, v2, v9
	ds_read_b64 v[8:9], v21 offset:80
	v_add_u32_e32 v3, v3, v10
	v_add_u32_e32 v4, v4, v11
	ds_write_b128 v21, v[1:4]
	s_waitcnt lgkmcnt(3)
	v_add_u32_e32 v1, v13, v12
	s_waitcnt lgkmcnt(2)
	v_add_u32_e32 v2, v14, v17
	v_add_u32_e32 v3, v15, v18
	;; [unrolled: 1-line block ×3, first 2 shown]
	ds_write_b128 v21, v[1:4] offset:16
	v_add_u32_e32 v1, v5, v20
	s_waitcnt lgkmcnt(2)
	v_add_u32_e32 v2, v6, v8
	v_add_u32_e32 v3, v7, v9
	ds_write_b96 v21, v[1:3] offset:32
.LBB25_59:
	s_or_b64 exec, exec, s[2:3]
	v_cmp_gt_u32_e32 vcc, 11, v0
	s_waitcnt lgkmcnt(0)
	s_barrier
	s_and_saveexec_b64 s[2:3], vcc
	s_cbranch_execz .LBB25_61
; %bb.60:
	v_mad_u64_u32 v[1:2], s[2:3], s6, 11, v[0:1]
	v_lshlrev_b32_e32 v0, 2, v0
	v_mov_b32_e32 v2, 0
	ds_read_b32 v4, v0
	v_lshlrev_b64 v[1:2], 2, v[1:2]
	v_mov_b32_e32 v3, s1
	v_add_co_u32_e32 v0, vcc, s0, v1
	v_addc_co_u32_e32 v1, vcc, v3, v2, vcc
	s_waitcnt lgkmcnt(0)
	global_store_dword v[0:1], v4, off
.LBB25_61:
	s_endpgm
	.section	.rodata,"a",@progbits
	.p2align	6, 0x0
	.amdhsa_kernel _ZN9rocsparseL35csrgemm_symbolic_group_reduce_part2ILj256ELj11EliEEvT2_PKT1_PS1_Pij
		.amdhsa_group_segment_fixed_size 11264
		.amdhsa_private_segment_fixed_size 0
		.amdhsa_kernarg_size 296
		.amdhsa_user_sgpr_count 6
		.amdhsa_user_sgpr_private_segment_buffer 1
		.amdhsa_user_sgpr_dispatch_ptr 0
		.amdhsa_user_sgpr_queue_ptr 0
		.amdhsa_user_sgpr_kernarg_segment_ptr 1
		.amdhsa_user_sgpr_dispatch_id 0
		.amdhsa_user_sgpr_flat_scratch_init 0
		.amdhsa_user_sgpr_private_segment_size 0
		.amdhsa_uses_dynamic_stack 0
		.amdhsa_system_sgpr_private_segment_wavefront_offset 0
		.amdhsa_system_sgpr_workgroup_id_x 1
		.amdhsa_system_sgpr_workgroup_id_y 0
		.amdhsa_system_sgpr_workgroup_id_z 0
		.amdhsa_system_sgpr_workgroup_info 0
		.amdhsa_system_vgpr_workitem_id 0
		.amdhsa_next_free_vgpr 41
		.amdhsa_next_free_sgpr 98
		.amdhsa_reserve_vcc 1
		.amdhsa_reserve_flat_scratch 0
		.amdhsa_float_round_mode_32 0
		.amdhsa_float_round_mode_16_64 0
		.amdhsa_float_denorm_mode_32 3
		.amdhsa_float_denorm_mode_16_64 3
		.amdhsa_dx10_clamp 1
		.amdhsa_ieee_mode 1
		.amdhsa_fp16_overflow 0
		.amdhsa_exception_fp_ieee_invalid_op 0
		.amdhsa_exception_fp_denorm_src 0
		.amdhsa_exception_fp_ieee_div_zero 0
		.amdhsa_exception_fp_ieee_overflow 0
		.amdhsa_exception_fp_ieee_underflow 0
		.amdhsa_exception_fp_ieee_inexact 0
		.amdhsa_exception_int_div_zero 0
	.end_amdhsa_kernel
	.section	.text._ZN9rocsparseL35csrgemm_symbolic_group_reduce_part2ILj256ELj11EliEEvT2_PKT1_PS1_Pij,"axG",@progbits,_ZN9rocsparseL35csrgemm_symbolic_group_reduce_part2ILj256ELj11EliEEvT2_PKT1_PS1_Pij,comdat
.Lfunc_end25:
	.size	_ZN9rocsparseL35csrgemm_symbolic_group_reduce_part2ILj256ELj11EliEEvT2_PKT1_PS1_Pij, .Lfunc_end25-_ZN9rocsparseL35csrgemm_symbolic_group_reduce_part2ILj256ELj11EliEEvT2_PKT1_PS1_Pij
                                        ; -- End function
	.set _ZN9rocsparseL35csrgemm_symbolic_group_reduce_part2ILj256ELj11EliEEvT2_PKT1_PS1_Pij.num_vgpr, 22
	.set _ZN9rocsparseL35csrgemm_symbolic_group_reduce_part2ILj256ELj11EliEEvT2_PKT1_PS1_Pij.num_agpr, 0
	.set _ZN9rocsparseL35csrgemm_symbolic_group_reduce_part2ILj256ELj11EliEEvT2_PKT1_PS1_Pij.numbered_sgpr, 60
	.set _ZN9rocsparseL35csrgemm_symbolic_group_reduce_part2ILj256ELj11EliEEvT2_PKT1_PS1_Pij.num_named_barrier, 0
	.set _ZN9rocsparseL35csrgemm_symbolic_group_reduce_part2ILj256ELj11EliEEvT2_PKT1_PS1_Pij.private_seg_size, 0
	.set _ZN9rocsparseL35csrgemm_symbolic_group_reduce_part2ILj256ELj11EliEEvT2_PKT1_PS1_Pij.uses_vcc, 1
	.set _ZN9rocsparseL35csrgemm_symbolic_group_reduce_part2ILj256ELj11EliEEvT2_PKT1_PS1_Pij.uses_flat_scratch, 0
	.set _ZN9rocsparseL35csrgemm_symbolic_group_reduce_part2ILj256ELj11EliEEvT2_PKT1_PS1_Pij.has_dyn_sized_stack, 0
	.set _ZN9rocsparseL35csrgemm_symbolic_group_reduce_part2ILj256ELj11EliEEvT2_PKT1_PS1_Pij.has_recursion, 0
	.set _ZN9rocsparseL35csrgemm_symbolic_group_reduce_part2ILj256ELj11EliEEvT2_PKT1_PS1_Pij.has_indirect_call, 0
	.section	.AMDGPU.csdata,"",@progbits
; Kernel info:
; codeLenInByte = 3216
; TotalNumSgprs: 64
; NumVgprs: 22
; ScratchSize: 0
; MemoryBound: 0
; FloatMode: 240
; IeeeMode: 1
; LDSByteSize: 11264 bytes/workgroup (compile time only)
; SGPRBlocks: 12
; VGPRBlocks: 10
; NumSGPRsForWavesPerEU: 102
; NumVGPRsForWavesPerEU: 41
; Occupancy: 5
; WaveLimiterHint : 0
; COMPUTE_PGM_RSRC2:SCRATCH_EN: 0
; COMPUTE_PGM_RSRC2:USER_SGPR: 6
; COMPUTE_PGM_RSRC2:TRAP_HANDLER: 0
; COMPUTE_PGM_RSRC2:TGID_X_EN: 1
; COMPUTE_PGM_RSRC2:TGID_Y_EN: 0
; COMPUTE_PGM_RSRC2:TGID_Z_EN: 0
; COMPUTE_PGM_RSRC2:TIDIG_COMP_CNT: 0
	.section	.text._ZN9rocsparseL32csrgemm_symbolic_fill_wf_per_rowILj256ELj8ELj16ELj137EliEEvT4_S1_PKS1_S3_PKT3_S3_S6_S3_S6_S3_S6_PS1_21rocsparse_index_base_S8_S8_S8_bb,"axG",@progbits,_ZN9rocsparseL32csrgemm_symbolic_fill_wf_per_rowILj256ELj8ELj16ELj137EliEEvT4_S1_PKS1_S3_PKT3_S3_S6_S3_S6_S3_S6_PS1_21rocsparse_index_base_S8_S8_S8_bb,comdat
	.globl	_ZN9rocsparseL32csrgemm_symbolic_fill_wf_per_rowILj256ELj8ELj16ELj137EliEEvT4_S1_PKS1_S3_PKT3_S3_S6_S3_S6_S3_S6_PS1_21rocsparse_index_base_S8_S8_S8_bb ; -- Begin function _ZN9rocsparseL32csrgemm_symbolic_fill_wf_per_rowILj256ELj8ELj16ELj137EliEEvT4_S1_PKS1_S3_PKT3_S3_S6_S3_S6_S3_S6_PS1_21rocsparse_index_base_S8_S8_S8_bb
	.p2align	8
	.type	_ZN9rocsparseL32csrgemm_symbolic_fill_wf_per_rowILj256ELj8ELj16ELj137EliEEvT4_S1_PKS1_S3_PKT3_S3_S6_S3_S6_S3_S6_PS1_21rocsparse_index_base_S8_S8_S8_bb,@function
_ZN9rocsparseL32csrgemm_symbolic_fill_wf_per_rowILj256ELj8ELj16ELj137EliEEvT4_S1_PKS1_S3_PKT3_S3_S6_S3_S6_S3_S6_PS1_21rocsparse_index_base_S8_S8_S8_bb: ; @_ZN9rocsparseL32csrgemm_symbolic_fill_wf_per_rowILj256ELj8ELj16ELj137EliEEvT4_S1_PKS1_S3_PKT3_S3_S6_S3_S6_S3_S6_PS1_21rocsparse_index_base_S8_S8_S8_bb
; %bb.0:
	s_load_dwordx2 s[28:29], s[4:5], 0x50
	s_load_dwordx4 s[0:3], s[4:5], 0x40
	s_load_dwordx8 s[8:15], s[4:5], 0x0
	s_load_dwordx8 s[16:23], s[4:5], 0x20
	v_and_b32_e32 v13, 7, v0
	v_lshrrev_b32_e32 v0, 3, v0
	v_lshlrev_b32_e32 v10, 6, v0
	v_or_b32_e32 v11, -8, v13
	v_lshl_or_b32 v12, v13, 2, v10
	s_mov_b64 s[24:25], 0
	s_waitcnt lgkmcnt(0)
	v_mov_b32_e32 v1, s9
	v_mov_b32_e32 v2, v12
	;; [unrolled: 1-line block ×3, first 2 shown]
.LBB26_1:                               ; =>This Inner Loop Header: Depth=1
	v_add_co_u32_e32 v3, vcc, 8, v3
	s_xor_b64 s[26:27], vcc, -1
	s_and_b64 s[26:27], exec, s[26:27]
	ds_write_b32 v2, v1
	s_or_b64 s[24:25], s[26:27], s[24:25]
	v_add_u32_e32 v2, 32, v2
	s_andn2_b64 exec, exec, s[24:25]
	s_cbranch_execnz .LBB26_1
; %bb.2:
	s_or_b64 exec, exec, s[24:25]
	s_lshl_b32 s6, s6, 5
	s_and_b32 s6, s6, 0x1fffffe0
	v_or_b32_e32 v0, s6, v0
	v_cmp_gt_i32_e32 vcc, s8, v0
	s_waitcnt lgkmcnt(0)
	s_and_saveexec_b64 s[6:7], vcc
	s_cbranch_execz .LBB26_38
; %bb.3:
	s_cmp_eq_u64 s[12:13], 0
	s_cbranch_scc1 .LBB26_5
; %bb.4:
	s_load_dword s6, s[10:11], 0x0
	v_mov_b32_e32 v2, s13
	s_waitcnt lgkmcnt(0)
	v_add_u32_e32 v0, s6, v0
	v_ashrrev_i32_e32 v1, 31, v0
	v_lshlrev_b64 v[0:1], 2, v[0:1]
	v_add_co_u32_e32 v0, vcc, s12, v0
	v_addc_co_u32_e32 v1, vcc, v2, v1, vcc
	global_load_dword v0, v[0:1], off
.LBB26_5:
	s_load_dword s8, s[4:5], 0x68
	s_load_dwordx4 s[24:27], s[4:5], 0x58
	s_waitcnt vmcnt(0)
	v_ashrrev_i32_e32 v1, 31, v0
	v_lshlrev_b64 v[4:5], 3, v[0:1]
	s_waitcnt lgkmcnt(0)
	s_bitcmp0_b32 s8, 0
	s_cbranch_scc1 .LBB26_21
; %bb.6:
	v_mov_b32_e32 v1, s15
	v_add_co_u32_e32 v0, vcc, s14, v4
	v_addc_co_u32_e32 v1, vcc, v1, v5, vcc
	global_load_dwordx4 v[0:3], v[0:1], off
	v_subrev_co_u32_e32 v8, vcc, s24, v13
	v_subb_co_u32_e64 v9, s[4:5], 0, 0, vcc
	s_waitcnt vmcnt(0)
	v_subrev_co_u32_e32 v6, vcc, s24, v2
	v_subbrev_co_u32_e32 v7, vcc, 0, v3, vcc
	v_add_co_u32_e32 v8, vcc, v0, v8
	v_addc_co_u32_e32 v9, vcc, v1, v9, vcc
	v_cmp_lt_i64_e32 vcc, v[8:9], v[6:7]
	s_and_saveexec_b64 s[4:5], vcc
	s_cbranch_execz .LBB26_20
; %bb.7:
	s_mov_b32 s33, s25
	s_mov_b64 s[6:7], 0
	v_mov_b32_e32 v14, s17
	v_mov_b32_e32 v15, s19
	s_branch .LBB26_9
.LBB26_8:                               ;   in Loop: Header=BB26_9 Depth=1
	s_or_b64 exec, exec, s[10:11]
	v_add_co_u32_e32 v8, vcc, 8, v8
	v_addc_co_u32_e32 v9, vcc, 0, v9, vcc
	v_cmp_ge_i64_e32 vcc, v[8:9], v[6:7]
	s_or_b64 s[6:7], vcc, s[6:7]
	s_andn2_b64 exec, exec, s[6:7]
	s_cbranch_execz .LBB26_20
.LBB26_9:                               ; =>This Loop Header: Depth=1
                                        ;     Child Loop BB26_12 Depth 2
                                        ;       Child Loop BB26_15 Depth 3
	v_lshlrev_b64 v[0:1], 2, v[8:9]
	v_add_co_u32_e32 v0, vcc, s16, v0
	v_addc_co_u32_e32 v1, vcc, v14, v1, vcc
	global_load_dword v0, v[0:1], off
	s_waitcnt vmcnt(0)
	v_subrev_u32_e32 v0, s24, v0
	v_ashrrev_i32_e32 v1, 31, v0
	v_lshlrev_b64 v[0:1], 3, v[0:1]
	v_add_co_u32_e32 v0, vcc, s18, v0
	v_addc_co_u32_e32 v1, vcc, v15, v1, vcc
	global_load_dwordx4 v[0:3], v[0:1], off
	s_waitcnt vmcnt(0)
	v_cmp_lt_i64_e32 vcc, v[0:1], v[2:3]
	s_and_saveexec_b64 s[10:11], vcc
	s_cbranch_execz .LBB26_8
; %bb.10:                               ;   in Loop: Header=BB26_9 Depth=1
	v_subrev_co_u32_e32 v2, vcc, s33, v2
	v_subbrev_co_u32_e32 v3, vcc, 0, v3, vcc
	v_subrev_co_u32_e32 v0, vcc, s33, v0
	v_subbrev_co_u32_e32 v1, vcc, 0, v1, vcc
	s_mov_b64 s[12:13], 0
	s_branch .LBB26_12
.LBB26_11:                              ;   in Loop: Header=BB26_12 Depth=2
	s_or_b64 exec, exec, s[30:31]
	v_add_co_u32_e32 v0, vcc, 1, v0
	v_addc_co_u32_e32 v1, vcc, 0, v1, vcc
	v_cmp_ge_i64_e32 vcc, v[0:1], v[2:3]
	s_or_b64 s[12:13], vcc, s[12:13]
	s_andn2_b64 exec, exec, s[12:13]
	s_cbranch_execz .LBB26_8
.LBB26_12:                              ;   Parent Loop BB26_9 Depth=1
                                        ; =>  This Loop Header: Depth=2
                                        ;       Child Loop BB26_15 Depth 3
	v_lshlrev_b64 v[16:17], 2, v[0:1]
	v_mov_b32_e32 v18, s21
	v_add_co_u32_e32 v16, vcc, s20, v16
	v_addc_co_u32_e32 v17, vcc, v18, v17, vcc
	global_load_dword v16, v[16:17], off
	s_mov_b64 s[30:31], 0
                                        ; implicit-def: $sgpr14_sgpr15
	s_waitcnt vmcnt(0)
	v_subrev_u32_e32 v16, s25, v16
	v_lshl_add_u32 v17, v16, 3, v16
	v_and_b32_e32 v17, 15, v17
	s_branch .LBB26_15
.LBB26_13:                              ;   in Loop: Header=BB26_15 Depth=3
	s_or_b64 exec, exec, s[36:37]
	s_andn2_b64 s[14:15], s[14:15], exec
	s_and_b64 s[36:37], s[38:39], exec
	s_or_b64 s[14:15], s[14:15], s[36:37]
.LBB26_14:                              ;   in Loop: Header=BB26_15 Depth=3
	s_or_b64 exec, exec, s[34:35]
	s_xor_b64 s[34:35], s[14:15], -1
	s_and_b64 s[34:35], exec, s[34:35]
	s_or_b64 s[30:31], s[34:35], s[30:31]
	s_andn2_b64 exec, exec, s[30:31]
	s_cbranch_execz .LBB26_11
.LBB26_15:                              ;   Parent Loop BB26_9 Depth=1
                                        ;     Parent Loop BB26_12 Depth=2
                                        ; =>    This Inner Loop Header: Depth=3
	v_lshl_add_u32 v18, v17, 2, v10
	ds_read_b32 v19, v18
	s_andn2_b64 s[14:15], s[14:15], exec
	s_waitcnt lgkmcnt(0)
	v_cmp_ne_u32_e32 vcc, v19, v16
	s_and_saveexec_b64 s[34:35], vcc
	s_cbranch_execz .LBB26_14
; %bb.16:                               ;   in Loop: Header=BB26_15 Depth=3
	v_cmp_ne_u32_e32 vcc, s9, v19
	s_and_saveexec_b64 s[36:37], vcc
	s_xor_b64 s[36:37], exec, s[36:37]
; %bb.17:                               ;   in Loop: Header=BB26_15 Depth=3
	v_add_u32_e32 v17, 1, v17
	v_and_b32_e32 v17, 15, v17
                                        ; implicit-def: $vgpr18
; %bb.18:                               ;   in Loop: Header=BB26_15 Depth=3
	s_or_saveexec_b64 s[36:37], s[36:37]
	s_mov_b64 s[38:39], -1
	s_xor_b64 exec, exec, s[36:37]
	s_cbranch_execz .LBB26_13
; %bb.19:                               ;   in Loop: Header=BB26_15 Depth=3
	v_mov_b32_e32 v19, s9
	ds_cmpst_rtn_b32 v18, v18, v19, v16
	s_waitcnt lgkmcnt(0)
	v_cmp_ne_u32_e32 vcc, s9, v18
	s_orn2_b64 s[38:39], vcc, exec
	s_branch .LBB26_13
.LBB26_20:
	s_or_b64 exec, exec, s[4:5]
.LBB26_21:
	s_bfe_u32 s4, s8, 0x10008
	s_cmp_eq_u32 s4, 0
	s_cbranch_scc1 .LBB26_34
; %bb.22:
	v_mov_b32_e32 v1, s23
	v_add_co_u32_e32 v0, vcc, s22, v4
	v_addc_co_u32_e32 v1, vcc, v1, v5, vcc
	global_load_dwordx4 v[6:9], v[0:1], off
	v_subrev_co_u32_e32 v2, vcc, s27, v13
	v_subb_co_u32_e64 v3, s[4:5], 0, 0, vcc
	s_waitcnt vmcnt(0)
	v_subrev_co_u32_e32 v0, vcc, s27, v8
	v_subbrev_co_u32_e32 v1, vcc, 0, v9, vcc
	v_add_co_u32_e32 v2, vcc, v6, v2
	v_addc_co_u32_e32 v3, vcc, v7, v3, vcc
	v_cmp_lt_i64_e32 vcc, v[2:3], v[0:1]
	s_and_saveexec_b64 s[4:5], vcc
	s_cbranch_execz .LBB26_33
; %bb.23:
	s_mov_b64 s[6:7], 0
	v_mov_b32_e32 v6, s1
	s_branch .LBB26_25
.LBB26_24:                              ;   in Loop: Header=BB26_25 Depth=1
	s_or_b64 exec, exec, s[12:13]
	v_add_co_u32_e32 v2, vcc, 8, v2
	v_addc_co_u32_e32 v3, vcc, 0, v3, vcc
	v_cmp_ge_i64_e32 vcc, v[2:3], v[0:1]
	s_or_b64 s[6:7], vcc, s[6:7]
	s_andn2_b64 exec, exec, s[6:7]
	s_cbranch_execz .LBB26_33
.LBB26_25:                              ; =>This Loop Header: Depth=1
                                        ;     Child Loop BB26_28 Depth 2
	v_lshlrev_b64 v[7:8], 2, v[2:3]
	s_mov_b64 s[12:13], 0
	v_add_co_u32_e32 v7, vcc, s0, v7
	v_addc_co_u32_e32 v8, vcc, v6, v8, vcc
	global_load_dword v7, v[7:8], off
                                        ; implicit-def: $sgpr10_sgpr11
	s_waitcnt vmcnt(0)
	v_subrev_u32_e32 v7, s27, v7
	v_lshl_add_u32 v8, v7, 3, v7
	v_and_b32_e32 v8, 15, v8
	s_branch .LBB26_28
.LBB26_26:                              ;   in Loop: Header=BB26_28 Depth=2
	s_or_b64 exec, exec, s[16:17]
	s_andn2_b64 s[10:11], s[10:11], exec
	s_and_b64 s[16:17], s[18:19], exec
	s_or_b64 s[10:11], s[10:11], s[16:17]
.LBB26_27:                              ;   in Loop: Header=BB26_28 Depth=2
	s_or_b64 exec, exec, s[14:15]
	s_xor_b64 s[14:15], s[10:11], -1
	s_and_b64 s[14:15], exec, s[14:15]
	s_or_b64 s[12:13], s[14:15], s[12:13]
	s_andn2_b64 exec, exec, s[12:13]
	s_cbranch_execz .LBB26_24
.LBB26_28:                              ;   Parent Loop BB26_25 Depth=1
                                        ; =>  This Inner Loop Header: Depth=2
	v_lshl_add_u32 v9, v8, 2, v10
	ds_read_b32 v13, v9
	s_andn2_b64 s[10:11], s[10:11], exec
	s_waitcnt lgkmcnt(0)
	v_cmp_ne_u32_e32 vcc, v13, v7
	s_and_saveexec_b64 s[14:15], vcc
	s_cbranch_execz .LBB26_27
; %bb.29:                               ;   in Loop: Header=BB26_28 Depth=2
	v_cmp_ne_u32_e32 vcc, s9, v13
	s_and_saveexec_b64 s[16:17], vcc
	s_xor_b64 s[16:17], exec, s[16:17]
; %bb.30:                               ;   in Loop: Header=BB26_28 Depth=2
	v_add_u32_e32 v8, 1, v8
	v_and_b32_e32 v8, 15, v8
                                        ; implicit-def: $vgpr9
; %bb.31:                               ;   in Loop: Header=BB26_28 Depth=2
	s_or_saveexec_b64 s[16:17], s[16:17]
	s_mov_b64 s[18:19], -1
	s_xor_b64 exec, exec, s[16:17]
	s_cbranch_execz .LBB26_26
; %bb.32:                               ;   in Loop: Header=BB26_28 Depth=2
	v_mov_b32_e32 v13, s9
	ds_cmpst_rtn_b32 v9, v9, v13, v7
	s_waitcnt lgkmcnt(0)
	v_cmp_ne_u32_e32 vcc, s9, v9
	s_orn2_b64 s[18:19], vcc, exec
	s_branch .LBB26_26
.LBB26_33:
	s_or_b64 exec, exec, s[4:5]
.LBB26_34:
	v_mov_b32_e32 v1, s3
	v_add_co_u32_e32 v0, vcc, s2, v4
	v_addc_co_u32_e32 v1, vcc, v1, v5, vcc
	global_load_dwordx2 v[0:1], v[0:1], off
	v_mov_b32_e32 v2, s29
	s_mov_b64 s[6:7], 0
	s_waitcnt vmcnt(0)
	v_subrev_co_u32_e32 v0, vcc, s26, v0
	v_subbrev_co_u32_e32 v1, vcc, 0, v1, vcc
	v_lshlrev_b64 v[0:1], 2, v[0:1]
	v_add_co_u32_e32 v0, vcc, s28, v0
	v_addc_co_u32_e32 v1, vcc, v2, v1, vcc
	s_branch .LBB26_36
.LBB26_35:                              ;   in Loop: Header=BB26_36 Depth=1
	s_or_b64 exec, exec, s[10:11]
	v_add_co_u32_e32 v11, vcc, 8, v11
	s_xor_b64 s[0:1], vcc, -1
	s_and_b64 s[0:1], exec, s[0:1]
	s_or_b64 s[6:7], s[0:1], s[6:7]
	v_add_u32_e32 v12, 32, v12
	s_andn2_b64 exec, exec, s[6:7]
	s_cbranch_execz .LBB26_38
.LBB26_36:                              ; =>This Inner Loop Header: Depth=1
	ds_read_b32 v2, v12
	s_waitcnt lgkmcnt(0)
	v_cmp_gt_i32_e32 vcc, s9, v2
	s_and_saveexec_b64 s[10:11], vcc
	s_cbranch_execz .LBB26_35
; %bb.37:                               ;   in Loop: Header=BB26_36 Depth=1
	ds_read_b128 v[3:6], v10
	ds_read_b128 v[13:16], v10 offset:16
	ds_read_b128 v[17:20], v10 offset:32
	;; [unrolled: 1-line block ×3, first 2 shown]
	s_waitcnt lgkmcnt(3)
	v_cmp_gt_i32_e32 vcc, v2, v3
	v_cndmask_b32_e64 v3, 0, 1, vcc
	v_cmp_gt_i32_e64 s[0:1], v2, v4
	v_lshlrev_b32_e32 v3, 2, v3
	v_cmp_gt_i32_e64 s[4:5], v2, v6
	v_add_co_u32_e32 v3, vcc, v0, v3
	v_cndmask_b32_e64 v6, 0, 1, s[0:1]
	v_cmp_gt_i32_e64 s[2:3], v2, v5
	v_addc_co_u32_e32 v5, vcc, 0, v1, vcc
	v_lshlrev_b32_e32 v6, 2, v6
	v_add_co_u32_e32 v3, vcc, v3, v6
	v_cndmask_b32_e64 v6, 0, 1, s[2:3]
	v_addc_co_u32_e32 v5, vcc, 0, v5, vcc
	v_lshlrev_b32_e32 v6, 2, v6
	v_add_co_u32_e32 v3, vcc, v3, v6
	v_cndmask_b32_e64 v6, 0, 1, s[4:5]
	v_addc_co_u32_e32 v5, vcc, 0, v5, vcc
	v_lshlrev_b32_e32 v6, 2, v6
	v_add_co_u32_e32 v3, vcc, v3, v6
	v_addc_co_u32_e32 v5, vcc, 0, v5, vcc
	s_waitcnt lgkmcnt(2)
	v_cmp_gt_i32_e32 vcc, v2, v13
	v_cndmask_b32_e64 v6, 0, 1, vcc
	v_lshlrev_b32_e32 v6, 2, v6
	v_add_co_u32_e32 v3, vcc, v3, v6
	v_addc_co_u32_e32 v5, vcc, 0, v5, vcc
	v_cmp_gt_i32_e32 vcc, v2, v14
	v_cndmask_b32_e64 v6, 0, 1, vcc
	v_lshlrev_b32_e32 v6, 2, v6
	v_add_co_u32_e32 v3, vcc, v3, v6
	v_addc_co_u32_e32 v5, vcc, 0, v5, vcc
	;; [unrolled: 5-line block ×4, first 2 shown]
	s_waitcnt lgkmcnt(1)
	v_cmp_gt_i32_e32 vcc, v2, v17
	v_cndmask_b32_e64 v6, 0, 1, vcc
	v_lshlrev_b32_e32 v6, 2, v6
	v_add_co_u32_e32 v3, vcc, v3, v6
	v_addc_co_u32_e32 v5, vcc, 0, v5, vcc
	v_cmp_gt_i32_e32 vcc, v2, v18
	v_cndmask_b32_e64 v6, 0, 1, vcc
	v_lshlrev_b32_e32 v6, 2, v6
	v_add_co_u32_e32 v3, vcc, v3, v6
	v_addc_co_u32_e32 v5, vcc, 0, v5, vcc
	;; [unrolled: 5-line block ×4, first 2 shown]
	s_waitcnt lgkmcnt(0)
	v_cmp_gt_i32_e32 vcc, v2, v21
	v_cndmask_b32_e64 v6, 0, 1, vcc
	v_lshlrev_b32_e32 v6, 2, v6
	v_add_co_u32_e32 v3, vcc, v3, v6
	v_addc_co_u32_e32 v5, vcc, 0, v5, vcc
	v_cmp_gt_i32_e32 vcc, v2, v22
	v_cndmask_b32_e64 v6, 0, 1, vcc
	v_lshlrev_b32_e32 v6, 2, v6
	v_add_co_u32_e32 v3, vcc, v3, v6
	v_addc_co_u32_e32 v5, vcc, 0, v5, vcc
	;; [unrolled: 5-line block ×3, first 2 shown]
	v_cmp_gt_i32_e32 vcc, v2, v24
	v_add_u32_e32 v4, s26, v2
	v_cndmask_b32_e64 v2, 0, 1, vcc
	v_lshlrev_b32_e32 v2, 2, v2
	v_add_co_u32_e32 v2, vcc, v3, v2
	v_addc_co_u32_e32 v3, vcc, 0, v5, vcc
	global_store_dword v[2:3], v4, off
	s_branch .LBB26_35
.LBB26_38:
	s_endpgm
	.section	.rodata,"a",@progbits
	.p2align	6, 0x0
	.amdhsa_kernel _ZN9rocsparseL32csrgemm_symbolic_fill_wf_per_rowILj256ELj8ELj16ELj137EliEEvT4_S1_PKS1_S3_PKT3_S3_S6_S3_S6_S3_S6_PS1_21rocsparse_index_base_S8_S8_S8_bb
		.amdhsa_group_segment_fixed_size 2048
		.amdhsa_private_segment_fixed_size 0
		.amdhsa_kernarg_size 108
		.amdhsa_user_sgpr_count 6
		.amdhsa_user_sgpr_private_segment_buffer 1
		.amdhsa_user_sgpr_dispatch_ptr 0
		.amdhsa_user_sgpr_queue_ptr 0
		.amdhsa_user_sgpr_kernarg_segment_ptr 1
		.amdhsa_user_sgpr_dispatch_id 0
		.amdhsa_user_sgpr_flat_scratch_init 0
		.amdhsa_user_sgpr_private_segment_size 0
		.amdhsa_uses_dynamic_stack 0
		.amdhsa_system_sgpr_private_segment_wavefront_offset 0
		.amdhsa_system_sgpr_workgroup_id_x 1
		.amdhsa_system_sgpr_workgroup_id_y 0
		.amdhsa_system_sgpr_workgroup_id_z 0
		.amdhsa_system_sgpr_workgroup_info 0
		.amdhsa_system_vgpr_workitem_id 0
		.amdhsa_next_free_vgpr 25
		.amdhsa_next_free_sgpr 40
		.amdhsa_reserve_vcc 1
		.amdhsa_reserve_flat_scratch 0
		.amdhsa_float_round_mode_32 0
		.amdhsa_float_round_mode_16_64 0
		.amdhsa_float_denorm_mode_32 3
		.amdhsa_float_denorm_mode_16_64 3
		.amdhsa_dx10_clamp 1
		.amdhsa_ieee_mode 1
		.amdhsa_fp16_overflow 0
		.amdhsa_exception_fp_ieee_invalid_op 0
		.amdhsa_exception_fp_denorm_src 0
		.amdhsa_exception_fp_ieee_div_zero 0
		.amdhsa_exception_fp_ieee_overflow 0
		.amdhsa_exception_fp_ieee_underflow 0
		.amdhsa_exception_fp_ieee_inexact 0
		.amdhsa_exception_int_div_zero 0
	.end_amdhsa_kernel
	.section	.text._ZN9rocsparseL32csrgemm_symbolic_fill_wf_per_rowILj256ELj8ELj16ELj137EliEEvT4_S1_PKS1_S3_PKT3_S3_S6_S3_S6_S3_S6_PS1_21rocsparse_index_base_S8_S8_S8_bb,"axG",@progbits,_ZN9rocsparseL32csrgemm_symbolic_fill_wf_per_rowILj256ELj8ELj16ELj137EliEEvT4_S1_PKS1_S3_PKT3_S3_S6_S3_S6_S3_S6_PS1_21rocsparse_index_base_S8_S8_S8_bb,comdat
.Lfunc_end26:
	.size	_ZN9rocsparseL32csrgemm_symbolic_fill_wf_per_rowILj256ELj8ELj16ELj137EliEEvT4_S1_PKS1_S3_PKT3_S3_S6_S3_S6_S3_S6_PS1_21rocsparse_index_base_S8_S8_S8_bb, .Lfunc_end26-_ZN9rocsparseL32csrgemm_symbolic_fill_wf_per_rowILj256ELj8ELj16ELj137EliEEvT4_S1_PKS1_S3_PKT3_S3_S6_S3_S6_S3_S6_PS1_21rocsparse_index_base_S8_S8_S8_bb
                                        ; -- End function
	.set _ZN9rocsparseL32csrgemm_symbolic_fill_wf_per_rowILj256ELj8ELj16ELj137EliEEvT4_S1_PKS1_S3_PKT3_S3_S6_S3_S6_S3_S6_PS1_21rocsparse_index_base_S8_S8_S8_bb.num_vgpr, 25
	.set _ZN9rocsparseL32csrgemm_symbolic_fill_wf_per_rowILj256ELj8ELj16ELj137EliEEvT4_S1_PKS1_S3_PKT3_S3_S6_S3_S6_S3_S6_PS1_21rocsparse_index_base_S8_S8_S8_bb.num_agpr, 0
	.set _ZN9rocsparseL32csrgemm_symbolic_fill_wf_per_rowILj256ELj8ELj16ELj137EliEEvT4_S1_PKS1_S3_PKT3_S3_S6_S3_S6_S3_S6_PS1_21rocsparse_index_base_S8_S8_S8_bb.numbered_sgpr, 40
	.set _ZN9rocsparseL32csrgemm_symbolic_fill_wf_per_rowILj256ELj8ELj16ELj137EliEEvT4_S1_PKS1_S3_PKT3_S3_S6_S3_S6_S3_S6_PS1_21rocsparse_index_base_S8_S8_S8_bb.num_named_barrier, 0
	.set _ZN9rocsparseL32csrgemm_symbolic_fill_wf_per_rowILj256ELj8ELj16ELj137EliEEvT4_S1_PKS1_S3_PKT3_S3_S6_S3_S6_S3_S6_PS1_21rocsparse_index_base_S8_S8_S8_bb.private_seg_size, 0
	.set _ZN9rocsparseL32csrgemm_symbolic_fill_wf_per_rowILj256ELj8ELj16ELj137EliEEvT4_S1_PKS1_S3_PKT3_S3_S6_S3_S6_S3_S6_PS1_21rocsparse_index_base_S8_S8_S8_bb.uses_vcc, 1
	.set _ZN9rocsparseL32csrgemm_symbolic_fill_wf_per_rowILj256ELj8ELj16ELj137EliEEvT4_S1_PKS1_S3_PKT3_S3_S6_S3_S6_S3_S6_PS1_21rocsparse_index_base_S8_S8_S8_bb.uses_flat_scratch, 0
	.set _ZN9rocsparseL32csrgemm_symbolic_fill_wf_per_rowILj256ELj8ELj16ELj137EliEEvT4_S1_PKS1_S3_PKT3_S3_S6_S3_S6_S3_S6_PS1_21rocsparse_index_base_S8_S8_S8_bb.has_dyn_sized_stack, 0
	.set _ZN9rocsparseL32csrgemm_symbolic_fill_wf_per_rowILj256ELj8ELj16ELj137EliEEvT4_S1_PKS1_S3_PKT3_S3_S6_S3_S6_S3_S6_PS1_21rocsparse_index_base_S8_S8_S8_bb.has_recursion, 0
	.set _ZN9rocsparseL32csrgemm_symbolic_fill_wf_per_rowILj256ELj8ELj16ELj137EliEEvT4_S1_PKS1_S3_PKT3_S3_S6_S3_S6_S3_S6_PS1_21rocsparse_index_base_S8_S8_S8_bb.has_indirect_call, 0
	.section	.AMDGPU.csdata,"",@progbits
; Kernel info:
; codeLenInByte = 1584
; TotalNumSgprs: 44
; NumVgprs: 25
; ScratchSize: 0
; MemoryBound: 0
; FloatMode: 240
; IeeeMode: 1
; LDSByteSize: 2048 bytes/workgroup (compile time only)
; SGPRBlocks: 5
; VGPRBlocks: 6
; NumSGPRsForWavesPerEU: 44
; NumVGPRsForWavesPerEU: 25
; Occupancy: 9
; WaveLimiterHint : 1
; COMPUTE_PGM_RSRC2:SCRATCH_EN: 0
; COMPUTE_PGM_RSRC2:USER_SGPR: 6
; COMPUTE_PGM_RSRC2:TRAP_HANDLER: 0
; COMPUTE_PGM_RSRC2:TGID_X_EN: 1
; COMPUTE_PGM_RSRC2:TGID_Y_EN: 0
; COMPUTE_PGM_RSRC2:TGID_Z_EN: 0
; COMPUTE_PGM_RSRC2:TIDIG_COMP_CNT: 0
	.section	.text._ZN9rocsparseL32csrgemm_symbolic_fill_wf_per_rowILj256ELj16ELj32ELj137EliEEvT4_S1_PKS1_S3_PKT3_S3_S6_S3_S6_S3_S6_PS1_21rocsparse_index_base_S8_S8_S8_bb,"axG",@progbits,_ZN9rocsparseL32csrgemm_symbolic_fill_wf_per_rowILj256ELj16ELj32ELj137EliEEvT4_S1_PKS1_S3_PKT3_S3_S6_S3_S6_S3_S6_PS1_21rocsparse_index_base_S8_S8_S8_bb,comdat
	.globl	_ZN9rocsparseL32csrgemm_symbolic_fill_wf_per_rowILj256ELj16ELj32ELj137EliEEvT4_S1_PKS1_S3_PKT3_S3_S6_S3_S6_S3_S6_PS1_21rocsparse_index_base_S8_S8_S8_bb ; -- Begin function _ZN9rocsparseL32csrgemm_symbolic_fill_wf_per_rowILj256ELj16ELj32ELj137EliEEvT4_S1_PKS1_S3_PKT3_S3_S6_S3_S6_S3_S6_PS1_21rocsparse_index_base_S8_S8_S8_bb
	.p2align	8
	.type	_ZN9rocsparseL32csrgemm_symbolic_fill_wf_per_rowILj256ELj16ELj32ELj137EliEEvT4_S1_PKS1_S3_PKT3_S3_S6_S3_S6_S3_S6_PS1_21rocsparse_index_base_S8_S8_S8_bb,@function
_ZN9rocsparseL32csrgemm_symbolic_fill_wf_per_rowILj256ELj16ELj32ELj137EliEEvT4_S1_PKS1_S3_PKT3_S3_S6_S3_S6_S3_S6_PS1_21rocsparse_index_base_S8_S8_S8_bb: ; @_ZN9rocsparseL32csrgemm_symbolic_fill_wf_per_rowILj256ELj16ELj32ELj137EliEEvT4_S1_PKS1_S3_PKT3_S3_S6_S3_S6_S3_S6_PS1_21rocsparse_index_base_S8_S8_S8_bb
; %bb.0:
	s_load_dwordx2 s[16:17], s[4:5], 0x50
	s_load_dwordx4 s[0:3], s[4:5], 0x40
	s_load_dwordx8 s[40:47], s[4:5], 0x0
	s_load_dwordx8 s[8:15], s[4:5], 0x20
	v_and_b32_e32 v13, 15, v0
	v_lshrrev_b32_e32 v0, 4, v0
	v_lshlrev_b32_e32 v10, 7, v0
	v_or_b32_e32 v11, -16, v13
	v_lshl_or_b32 v12, v13, 2, v10
	s_mov_b64 s[18:19], 0
	s_waitcnt lgkmcnt(0)
	v_mov_b32_e32 v1, s41
	v_mov_b32_e32 v2, v12
	;; [unrolled: 1-line block ×3, first 2 shown]
.LBB27_1:                               ; =>This Inner Loop Header: Depth=1
	v_add_co_u32_e32 v3, vcc, 16, v3
	s_xor_b64 s[20:21], vcc, -1
	s_and_b64 s[20:21], exec, s[20:21]
	ds_write_b32 v2, v1
	s_or_b64 s[18:19], s[20:21], s[18:19]
	v_add_u32_e32 v2, 64, v2
	s_andn2_b64 exec, exec, s[18:19]
	s_cbranch_execnz .LBB27_1
; %bb.2:
	s_or_b64 exec, exec, s[18:19]
	s_lshl_b32 s6, s6, 4
	s_and_b32 s6, s6, 0xffffff0
	v_or_b32_e32 v0, s6, v0
	v_cmp_gt_i32_e32 vcc, s40, v0
	s_waitcnt lgkmcnt(0)
	s_and_saveexec_b64 s[6:7], vcc
	s_cbranch_execz .LBB27_38
; %bb.3:
	s_cmp_eq_u64 s[44:45], 0
	s_cbranch_scc1 .LBB27_5
; %bb.4:
	s_load_dword s6, s[42:43], 0x0
	v_mov_b32_e32 v2, s45
	s_waitcnt lgkmcnt(0)
	v_add_u32_e32 v0, s6, v0
	v_ashrrev_i32_e32 v1, 31, v0
	v_lshlrev_b64 v[0:1], 2, v[0:1]
	v_add_co_u32_e32 v0, vcc, s44, v0
	v_addc_co_u32_e32 v1, vcc, v2, v1, vcc
	global_load_dword v0, v[0:1], off
.LBB27_5:
	s_load_dword s33, s[4:5], 0x68
	s_load_dwordx4 s[48:51], s[4:5], 0x58
	s_waitcnt vmcnt(0)
	v_ashrrev_i32_e32 v1, 31, v0
	v_lshlrev_b64 v[4:5], 3, v[0:1]
	s_waitcnt lgkmcnt(0)
	s_bitcmp0_b32 s33, 0
	s_cbranch_scc1 .LBB27_21
; %bb.6:
	v_mov_b32_e32 v1, s47
	v_add_co_u32_e32 v0, vcc, s46, v4
	v_addc_co_u32_e32 v1, vcc, v1, v5, vcc
	global_load_dwordx4 v[0:3], v[0:1], off
	v_subrev_co_u32_e32 v8, vcc, s48, v13
	v_subb_co_u32_e64 v9, s[4:5], 0, 0, vcc
	s_waitcnt vmcnt(0)
	v_subrev_co_u32_e32 v6, vcc, s48, v2
	v_subbrev_co_u32_e32 v7, vcc, 0, v3, vcc
	v_add_co_u32_e32 v8, vcc, v0, v8
	v_addc_co_u32_e32 v9, vcc, v1, v9, vcc
	v_cmp_lt_i64_e32 vcc, v[8:9], v[6:7]
	s_and_saveexec_b64 s[4:5], vcc
	s_cbranch_execz .LBB27_20
; %bb.7:
	s_mov_b32 s34, s49
	s_mov_b64 s[6:7], 0
	v_mov_b32_e32 v14, s9
	v_mov_b32_e32 v15, s11
	s_branch .LBB27_9
.LBB27_8:                               ;   in Loop: Header=BB27_9 Depth=1
	s_or_b64 exec, exec, s[18:19]
	v_add_co_u32_e32 v8, vcc, 16, v8
	v_addc_co_u32_e32 v9, vcc, 0, v9, vcc
	v_cmp_ge_i64_e32 vcc, v[8:9], v[6:7]
	s_or_b64 s[6:7], vcc, s[6:7]
	s_andn2_b64 exec, exec, s[6:7]
	s_cbranch_execz .LBB27_20
.LBB27_9:                               ; =>This Loop Header: Depth=1
                                        ;     Child Loop BB27_12 Depth 2
                                        ;       Child Loop BB27_15 Depth 3
	v_lshlrev_b64 v[0:1], 2, v[8:9]
	v_add_co_u32_e32 v0, vcc, s8, v0
	v_addc_co_u32_e32 v1, vcc, v14, v1, vcc
	global_load_dword v0, v[0:1], off
	s_waitcnt vmcnt(0)
	v_subrev_u32_e32 v0, s48, v0
	v_ashrrev_i32_e32 v1, 31, v0
	v_lshlrev_b64 v[0:1], 3, v[0:1]
	v_add_co_u32_e32 v0, vcc, s10, v0
	v_addc_co_u32_e32 v1, vcc, v15, v1, vcc
	global_load_dwordx4 v[0:3], v[0:1], off
	s_waitcnt vmcnt(0)
	v_cmp_lt_i64_e32 vcc, v[0:1], v[2:3]
	s_and_saveexec_b64 s[18:19], vcc
	s_cbranch_execz .LBB27_8
; %bb.10:                               ;   in Loop: Header=BB27_9 Depth=1
	v_subrev_co_u32_e32 v2, vcc, s34, v2
	v_subbrev_co_u32_e32 v3, vcc, 0, v3, vcc
	v_subrev_co_u32_e32 v0, vcc, s34, v0
	v_subbrev_co_u32_e32 v1, vcc, 0, v1, vcc
	s_mov_b64 s[20:21], 0
	s_branch .LBB27_12
.LBB27_11:                              ;   in Loop: Header=BB27_12 Depth=2
	s_or_b64 exec, exec, s[24:25]
	v_add_co_u32_e32 v0, vcc, 1, v0
	v_addc_co_u32_e32 v1, vcc, 0, v1, vcc
	v_cmp_ge_i64_e32 vcc, v[0:1], v[2:3]
	s_or_b64 s[20:21], vcc, s[20:21]
	s_andn2_b64 exec, exec, s[20:21]
	s_cbranch_execz .LBB27_8
.LBB27_12:                              ;   Parent Loop BB27_9 Depth=1
                                        ; =>  This Loop Header: Depth=2
                                        ;       Child Loop BB27_15 Depth 3
	v_lshlrev_b64 v[16:17], 2, v[0:1]
	v_mov_b32_e32 v18, s13
	v_add_co_u32_e32 v16, vcc, s12, v16
	v_addc_co_u32_e32 v17, vcc, v18, v17, vcc
	global_load_dword v16, v[16:17], off
	s_mov_b64 s[24:25], 0
                                        ; implicit-def: $sgpr22_sgpr23
	s_waitcnt vmcnt(0)
	v_subrev_u32_e32 v16, s49, v16
	v_lshl_add_u32 v17, v16, 3, v16
	v_and_b32_e32 v17, 31, v17
	s_branch .LBB27_15
.LBB27_13:                              ;   in Loop: Header=BB27_15 Depth=3
	s_or_b64 exec, exec, s[28:29]
	s_andn2_b64 s[22:23], s[22:23], exec
	s_and_b64 s[28:29], s[30:31], exec
	s_or_b64 s[22:23], s[22:23], s[28:29]
.LBB27_14:                              ;   in Loop: Header=BB27_15 Depth=3
	s_or_b64 exec, exec, s[26:27]
	s_xor_b64 s[26:27], s[22:23], -1
	s_and_b64 s[26:27], exec, s[26:27]
	s_or_b64 s[24:25], s[26:27], s[24:25]
	s_andn2_b64 exec, exec, s[24:25]
	s_cbranch_execz .LBB27_11
.LBB27_15:                              ;   Parent Loop BB27_9 Depth=1
                                        ;     Parent Loop BB27_12 Depth=2
                                        ; =>    This Inner Loop Header: Depth=3
	v_lshl_add_u32 v18, v17, 2, v10
	ds_read_b32 v19, v18
	s_andn2_b64 s[22:23], s[22:23], exec
	s_waitcnt lgkmcnt(0)
	v_cmp_ne_u32_e32 vcc, v19, v16
	s_and_saveexec_b64 s[26:27], vcc
	s_cbranch_execz .LBB27_14
; %bb.16:                               ;   in Loop: Header=BB27_15 Depth=3
	v_cmp_ne_u32_e32 vcc, s41, v19
	s_and_saveexec_b64 s[28:29], vcc
	s_xor_b64 s[28:29], exec, s[28:29]
; %bb.17:                               ;   in Loop: Header=BB27_15 Depth=3
	v_add_u32_e32 v17, 1, v17
	v_and_b32_e32 v17, 31, v17
                                        ; implicit-def: $vgpr18
; %bb.18:                               ;   in Loop: Header=BB27_15 Depth=3
	s_or_saveexec_b64 s[28:29], s[28:29]
	s_mov_b64 s[30:31], -1
	s_xor_b64 exec, exec, s[28:29]
	s_cbranch_execz .LBB27_13
; %bb.19:                               ;   in Loop: Header=BB27_15 Depth=3
	v_mov_b32_e32 v19, s41
	ds_cmpst_rtn_b32 v18, v18, v19, v16
	s_waitcnt lgkmcnt(0)
	v_cmp_ne_u32_e32 vcc, s41, v18
	s_orn2_b64 s[30:31], vcc, exec
	s_branch .LBB27_13
.LBB27_20:
	s_or_b64 exec, exec, s[4:5]
.LBB27_21:
	s_bfe_u32 s4, s33, 0x10008
	s_cmp_eq_u32 s4, 0
	s_cbranch_scc1 .LBB27_34
; %bb.22:
	v_mov_b32_e32 v1, s15
	v_add_co_u32_e32 v0, vcc, s14, v4
	v_addc_co_u32_e32 v1, vcc, v1, v5, vcc
	global_load_dwordx4 v[6:9], v[0:1], off
	v_subrev_co_u32_e32 v2, vcc, s51, v13
	v_subb_co_u32_e64 v3, s[4:5], 0, 0, vcc
	s_waitcnt vmcnt(0)
	v_subrev_co_u32_e32 v0, vcc, s51, v8
	v_subbrev_co_u32_e32 v1, vcc, 0, v9, vcc
	v_add_co_u32_e32 v2, vcc, v6, v2
	v_addc_co_u32_e32 v3, vcc, v7, v3, vcc
	v_cmp_lt_i64_e32 vcc, v[2:3], v[0:1]
	s_and_saveexec_b64 s[4:5], vcc
	s_cbranch_execz .LBB27_33
; %bb.23:
	s_mov_b64 s[6:7], 0
	v_mov_b32_e32 v6, s1
	s_branch .LBB27_25
.LBB27_24:                              ;   in Loop: Header=BB27_25 Depth=1
	s_or_b64 exec, exec, s[10:11]
	v_add_co_u32_e32 v2, vcc, 16, v2
	v_addc_co_u32_e32 v3, vcc, 0, v3, vcc
	v_cmp_ge_i64_e32 vcc, v[2:3], v[0:1]
	s_or_b64 s[6:7], vcc, s[6:7]
	s_andn2_b64 exec, exec, s[6:7]
	s_cbranch_execz .LBB27_33
.LBB27_25:                              ; =>This Loop Header: Depth=1
                                        ;     Child Loop BB27_28 Depth 2
	v_lshlrev_b64 v[7:8], 2, v[2:3]
	s_mov_b64 s[10:11], 0
	v_add_co_u32_e32 v7, vcc, s0, v7
	v_addc_co_u32_e32 v8, vcc, v6, v8, vcc
	global_load_dword v7, v[7:8], off
                                        ; implicit-def: $sgpr8_sgpr9
	s_waitcnt vmcnt(0)
	v_subrev_u32_e32 v7, s51, v7
	v_lshl_add_u32 v8, v7, 3, v7
	v_and_b32_e32 v8, 31, v8
	s_branch .LBB27_28
.LBB27_26:                              ;   in Loop: Header=BB27_28 Depth=2
	s_or_b64 exec, exec, s[14:15]
	s_andn2_b64 s[8:9], s[8:9], exec
	s_and_b64 s[14:15], s[18:19], exec
	s_or_b64 s[8:9], s[8:9], s[14:15]
.LBB27_27:                              ;   in Loop: Header=BB27_28 Depth=2
	s_or_b64 exec, exec, s[12:13]
	s_xor_b64 s[12:13], s[8:9], -1
	s_and_b64 s[12:13], exec, s[12:13]
	s_or_b64 s[10:11], s[12:13], s[10:11]
	s_andn2_b64 exec, exec, s[10:11]
	s_cbranch_execz .LBB27_24
.LBB27_28:                              ;   Parent Loop BB27_25 Depth=1
                                        ; =>  This Inner Loop Header: Depth=2
	v_lshl_add_u32 v9, v8, 2, v10
	ds_read_b32 v13, v9
	s_andn2_b64 s[8:9], s[8:9], exec
	s_waitcnt lgkmcnt(0)
	v_cmp_ne_u32_e32 vcc, v13, v7
	s_and_saveexec_b64 s[12:13], vcc
	s_cbranch_execz .LBB27_27
; %bb.29:                               ;   in Loop: Header=BB27_28 Depth=2
	v_cmp_ne_u32_e32 vcc, s41, v13
	s_and_saveexec_b64 s[14:15], vcc
	s_xor_b64 s[14:15], exec, s[14:15]
; %bb.30:                               ;   in Loop: Header=BB27_28 Depth=2
	v_add_u32_e32 v8, 1, v8
	v_and_b32_e32 v8, 31, v8
                                        ; implicit-def: $vgpr9
; %bb.31:                               ;   in Loop: Header=BB27_28 Depth=2
	s_or_saveexec_b64 s[14:15], s[14:15]
	s_mov_b64 s[18:19], -1
	s_xor_b64 exec, exec, s[14:15]
	s_cbranch_execz .LBB27_26
; %bb.32:                               ;   in Loop: Header=BB27_28 Depth=2
	v_mov_b32_e32 v13, s41
	ds_cmpst_rtn_b32 v9, v9, v13, v7
	s_waitcnt lgkmcnt(0)
	v_cmp_ne_u32_e32 vcc, s41, v9
	s_orn2_b64 s[18:19], vcc, exec
	s_branch .LBB27_26
.LBB27_33:
	s_or_b64 exec, exec, s[4:5]
.LBB27_34:
	v_mov_b32_e32 v1, s3
	v_add_co_u32_e32 v0, vcc, s2, v4
	v_addc_co_u32_e32 v1, vcc, v1, v5, vcc
	global_load_dwordx2 v[0:1], v[0:1], off
	v_mov_b32_e32 v2, s17
	s_mov_b64 s[42:43], 0
	s_waitcnt vmcnt(0)
	v_subrev_co_u32_e32 v0, vcc, s50, v0
	v_subbrev_co_u32_e32 v1, vcc, 0, v1, vcc
	v_lshlrev_b64 v[0:1], 2, v[0:1]
	v_add_co_u32_e32 v0, vcc, s16, v0
	v_addc_co_u32_e32 v1, vcc, v2, v1, vcc
	s_branch .LBB27_36
.LBB27_35:                              ;   in Loop: Header=BB27_36 Depth=1
	s_or_b64 exec, exec, s[44:45]
	v_add_co_u32_e32 v11, vcc, 16, v11
	s_xor_b64 s[0:1], vcc, -1
	s_and_b64 s[0:1], exec, s[0:1]
	s_or_b64 s[42:43], s[0:1], s[42:43]
	v_add_u32_e32 v12, 64, v12
	s_andn2_b64 exec, exec, s[42:43]
	s_cbranch_execz .LBB27_38
.LBB27_36:                              ; =>This Inner Loop Header: Depth=1
	ds_read_b32 v2, v12
	s_waitcnt lgkmcnt(0)
	v_cmp_gt_i32_e32 vcc, s41, v2
	s_and_saveexec_b64 s[44:45], vcc
	s_cbranch_execz .LBB27_35
; %bb.37:                               ;   in Loop: Header=BB27_36 Depth=1
	ds_read_b128 v[3:6], v10
	ds_read_b128 v[13:16], v10 offset:16
	ds_read_b128 v[17:20], v10 offset:32
	ds_read_b128 v[21:24], v10 offset:48
	v_add_u32_e32 v7, s50, v2
	s_waitcnt lgkmcnt(3)
	v_cmp_gt_i32_e32 vcc, v2, v3
	v_cndmask_b32_e64 v8, 0, 1, vcc
	v_cmp_gt_i32_e64 s[0:1], v2, v4
	v_lshlrev_b32_e32 v8, 2, v8
	s_waitcnt lgkmcnt(0)
	v_cmp_gt_i32_e64 s[22:23], v2, v21
	v_add_co_u32_e32 v8, vcc, v0, v8
	v_cndmask_b32_e64 v21, 0, 1, s[0:1]
	v_cmp_gt_i32_e64 s[2:3], v2, v5
	v_addc_co_u32_e32 v9, vcc, 0, v1, vcc
	v_lshlrev_b32_e32 v21, 2, v21
	v_add_co_u32_e32 v8, vcc, v8, v21
	v_cndmask_b32_e64 v21, 0, 1, s[2:3]
	v_cmp_gt_i32_e64 s[4:5], v2, v6
	v_addc_co_u32_e32 v9, vcc, 0, v9, vcc
	v_lshlrev_b32_e32 v21, 2, v21
	;; [unrolled: 5-line block ×10, first 2 shown]
	v_add_co_u32_e32 v8, vcc, v8, v21
	v_cndmask_b32_e64 v21, 0, 1, s[20:21]
	v_addc_co_u32_e32 v9, vcc, 0, v9, vcc
	v_lshlrev_b32_e32 v21, 2, v21
	v_add_co_u32_e32 v8, vcc, v8, v21
	v_cndmask_b32_e64 v21, 0, 1, s[22:23]
	v_cmp_gt_i32_e64 s[24:25], v2, v22
	v_addc_co_u32_e32 v9, vcc, 0, v9, vcc
	v_lshlrev_b32_e32 v21, 2, v21
	ds_read_b128 v[3:6], v10 offset:64
	ds_read_b128 v[13:16], v10 offset:80
	v_add_co_u32_e32 v8, vcc, v8, v21
	v_cndmask_b32_e64 v21, 0, 1, s[24:25]
	v_cmp_gt_i32_e64 s[26:27], v2, v23
	v_addc_co_u32_e32 v9, vcc, 0, v9, vcc
	v_lshlrev_b32_e32 v21, 2, v21
	v_add_co_u32_e32 v8, vcc, v8, v21
	v_cndmask_b32_e64 v21, 0, 1, s[26:27]
	v_cmp_gt_i32_e64 s[28:29], v2, v24
	v_addc_co_u32_e32 v9, vcc, 0, v9, vcc
	v_lshlrev_b32_e32 v21, 2, v21
	v_add_co_u32_e32 v8, vcc, v8, v21
	v_cndmask_b32_e64 v21, 0, 1, s[28:29]
	s_waitcnt lgkmcnt(1)
	v_cmp_gt_i32_e64 s[30:31], v2, v3
	v_addc_co_u32_e32 v9, vcc, 0, v9, vcc
	v_lshlrev_b32_e32 v21, 2, v21
	v_add_co_u32_e32 v8, vcc, v8, v21
	v_cndmask_b32_e64 v21, 0, 1, s[30:31]
	v_cmp_gt_i32_e64 s[34:35], v2, v4
	v_addc_co_u32_e32 v9, vcc, 0, v9, vcc
	v_lshlrev_b32_e32 v21, 2, v21
	v_add_co_u32_e32 v8, vcc, v8, v21
	v_cndmask_b32_e64 v21, 0, 1, s[34:35]
	;; [unrolled: 5-line block ×4, first 2 shown]
	v_addc_co_u32_e32 v9, vcc, 0, v9, vcc
	v_lshlrev_b32_e32 v21, 2, v21
	v_add_co_u32_e32 v8, vcc, v8, v21
	v_addc_co_u32_e32 v9, vcc, 0, v9, vcc
	s_waitcnt lgkmcnt(0)
	v_cmp_gt_i32_e32 vcc, v2, v13
	v_cndmask_b32_e64 v13, 0, 1, vcc
	v_lshlrev_b32_e32 v13, 2, v13
	v_add_co_u32_e32 v8, vcc, v8, v13
	v_addc_co_u32_e32 v9, vcc, 0, v9, vcc
	v_cmp_gt_i32_e32 vcc, v2, v14
	v_cndmask_b32_e64 v13, 0, 1, vcc
	v_lshlrev_b32_e32 v13, 2, v13
	v_add_co_u32_e32 v8, vcc, v8, v13
	v_addc_co_u32_e32 v9, vcc, 0, v9, vcc
	;; [unrolled: 5-line block ×3, first 2 shown]
	v_cmp_gt_i32_e32 vcc, v2, v16
	ds_read_b128 v[3:6], v10 offset:96
	ds_read_b128 v[17:20], v10 offset:112
	v_cndmask_b32_e64 v13, 0, 1, vcc
	v_lshlrev_b32_e32 v13, 2, v13
	v_add_co_u32_e32 v8, vcc, v8, v13
	v_addc_co_u32_e32 v9, vcc, 0, v9, vcc
	s_waitcnt lgkmcnt(1)
	v_cmp_gt_i32_e32 vcc, v2, v3
	v_cndmask_b32_e64 v3, 0, 1, vcc
	v_lshlrev_b32_e32 v3, 2, v3
	v_add_co_u32_e32 v3, vcc, v8, v3
	v_addc_co_u32_e32 v8, vcc, 0, v9, vcc
	v_cmp_gt_i32_e32 vcc, v2, v4
	v_cndmask_b32_e64 v4, 0, 1, vcc
	v_lshlrev_b32_e32 v4, 2, v4
	v_add_co_u32_e32 v3, vcc, v3, v4
	v_addc_co_u32_e32 v4, vcc, 0, v8, vcc
	;; [unrolled: 5-line block ×4, first 2 shown]
	s_waitcnt lgkmcnt(0)
	v_cmp_gt_i32_e32 vcc, v2, v17
	v_cndmask_b32_e64 v5, 0, 1, vcc
	v_lshlrev_b32_e32 v5, 2, v5
	v_add_co_u32_e32 v3, vcc, v3, v5
	v_addc_co_u32_e32 v4, vcc, 0, v4, vcc
	v_cmp_gt_i32_e32 vcc, v2, v18
	v_cndmask_b32_e64 v5, 0, 1, vcc
	v_lshlrev_b32_e32 v5, 2, v5
	v_add_co_u32_e32 v3, vcc, v3, v5
	v_addc_co_u32_e32 v4, vcc, 0, v4, vcc
	;; [unrolled: 5-line block ×4, first 2 shown]
	global_store_dword v[2:3], v7, off
	s_branch .LBB27_35
.LBB27_38:
	s_endpgm
	.section	.rodata,"a",@progbits
	.p2align	6, 0x0
	.amdhsa_kernel _ZN9rocsparseL32csrgemm_symbolic_fill_wf_per_rowILj256ELj16ELj32ELj137EliEEvT4_S1_PKS1_S3_PKT3_S3_S6_S3_S6_S3_S6_PS1_21rocsparse_index_base_S8_S8_S8_bb
		.amdhsa_group_segment_fixed_size 2048
		.amdhsa_private_segment_fixed_size 0
		.amdhsa_kernarg_size 108
		.amdhsa_user_sgpr_count 6
		.amdhsa_user_sgpr_private_segment_buffer 1
		.amdhsa_user_sgpr_dispatch_ptr 0
		.amdhsa_user_sgpr_queue_ptr 0
		.amdhsa_user_sgpr_kernarg_segment_ptr 1
		.amdhsa_user_sgpr_dispatch_id 0
		.amdhsa_user_sgpr_flat_scratch_init 0
		.amdhsa_user_sgpr_private_segment_size 0
		.amdhsa_uses_dynamic_stack 0
		.amdhsa_system_sgpr_private_segment_wavefront_offset 0
		.amdhsa_system_sgpr_workgroup_id_x 1
		.amdhsa_system_sgpr_workgroup_id_y 0
		.amdhsa_system_sgpr_workgroup_id_z 0
		.amdhsa_system_sgpr_workgroup_info 0
		.amdhsa_system_vgpr_workitem_id 0
		.amdhsa_next_free_vgpr 25
		.amdhsa_next_free_sgpr 52
		.amdhsa_reserve_vcc 1
		.amdhsa_reserve_flat_scratch 0
		.amdhsa_float_round_mode_32 0
		.amdhsa_float_round_mode_16_64 0
		.amdhsa_float_denorm_mode_32 3
		.amdhsa_float_denorm_mode_16_64 3
		.amdhsa_dx10_clamp 1
		.amdhsa_ieee_mode 1
		.amdhsa_fp16_overflow 0
		.amdhsa_exception_fp_ieee_invalid_op 0
		.amdhsa_exception_fp_denorm_src 0
		.amdhsa_exception_fp_ieee_div_zero 0
		.amdhsa_exception_fp_ieee_overflow 0
		.amdhsa_exception_fp_ieee_underflow 0
		.amdhsa_exception_fp_ieee_inexact 0
		.amdhsa_exception_int_div_zero 0
	.end_amdhsa_kernel
	.section	.text._ZN9rocsparseL32csrgemm_symbolic_fill_wf_per_rowILj256ELj16ELj32ELj137EliEEvT4_S1_PKS1_S3_PKT3_S3_S6_S3_S6_S3_S6_PS1_21rocsparse_index_base_S8_S8_S8_bb,"axG",@progbits,_ZN9rocsparseL32csrgemm_symbolic_fill_wf_per_rowILj256ELj16ELj32ELj137EliEEvT4_S1_PKS1_S3_PKT3_S3_S6_S3_S6_S3_S6_PS1_21rocsparse_index_base_S8_S8_S8_bb,comdat
.Lfunc_end27:
	.size	_ZN9rocsparseL32csrgemm_symbolic_fill_wf_per_rowILj256ELj16ELj32ELj137EliEEvT4_S1_PKS1_S3_PKT3_S3_S6_S3_S6_S3_S6_PS1_21rocsparse_index_base_S8_S8_S8_bb, .Lfunc_end27-_ZN9rocsparseL32csrgemm_symbolic_fill_wf_per_rowILj256ELj16ELj32ELj137EliEEvT4_S1_PKS1_S3_PKT3_S3_S6_S3_S6_S3_S6_PS1_21rocsparse_index_base_S8_S8_S8_bb
                                        ; -- End function
	.set _ZN9rocsparseL32csrgemm_symbolic_fill_wf_per_rowILj256ELj16ELj32ELj137EliEEvT4_S1_PKS1_S3_PKT3_S3_S6_S3_S6_S3_S6_PS1_21rocsparse_index_base_S8_S8_S8_bb.num_vgpr, 25
	.set _ZN9rocsparseL32csrgemm_symbolic_fill_wf_per_rowILj256ELj16ELj32ELj137EliEEvT4_S1_PKS1_S3_PKT3_S3_S6_S3_S6_S3_S6_PS1_21rocsparse_index_base_S8_S8_S8_bb.num_agpr, 0
	.set _ZN9rocsparseL32csrgemm_symbolic_fill_wf_per_rowILj256ELj16ELj32ELj137EliEEvT4_S1_PKS1_S3_PKT3_S3_S6_S3_S6_S3_S6_PS1_21rocsparse_index_base_S8_S8_S8_bb.numbered_sgpr, 52
	.set _ZN9rocsparseL32csrgemm_symbolic_fill_wf_per_rowILj256ELj16ELj32ELj137EliEEvT4_S1_PKS1_S3_PKT3_S3_S6_S3_S6_S3_S6_PS1_21rocsparse_index_base_S8_S8_S8_bb.num_named_barrier, 0
	.set _ZN9rocsparseL32csrgemm_symbolic_fill_wf_per_rowILj256ELj16ELj32ELj137EliEEvT4_S1_PKS1_S3_PKT3_S3_S6_S3_S6_S3_S6_PS1_21rocsparse_index_base_S8_S8_S8_bb.private_seg_size, 0
	.set _ZN9rocsparseL32csrgemm_symbolic_fill_wf_per_rowILj256ELj16ELj32ELj137EliEEvT4_S1_PKS1_S3_PKT3_S3_S6_S3_S6_S3_S6_PS1_21rocsparse_index_base_S8_S8_S8_bb.uses_vcc, 1
	.set _ZN9rocsparseL32csrgemm_symbolic_fill_wf_per_rowILj256ELj16ELj32ELj137EliEEvT4_S1_PKS1_S3_PKT3_S3_S6_S3_S6_S3_S6_PS1_21rocsparse_index_base_S8_S8_S8_bb.uses_flat_scratch, 0
	.set _ZN9rocsparseL32csrgemm_symbolic_fill_wf_per_rowILj256ELj16ELj32ELj137EliEEvT4_S1_PKS1_S3_PKT3_S3_S6_S3_S6_S3_S6_PS1_21rocsparse_index_base_S8_S8_S8_bb.has_dyn_sized_stack, 0
	.set _ZN9rocsparseL32csrgemm_symbolic_fill_wf_per_rowILj256ELj16ELj32ELj137EliEEvT4_S1_PKS1_S3_PKT3_S3_S6_S3_S6_S3_S6_PS1_21rocsparse_index_base_S8_S8_S8_bb.has_recursion, 0
	.set _ZN9rocsparseL32csrgemm_symbolic_fill_wf_per_rowILj256ELj16ELj32ELj137EliEEvT4_S1_PKS1_S3_PKT3_S3_S6_S3_S6_S3_S6_PS1_21rocsparse_index_base_S8_S8_S8_bb.has_indirect_call, 0
	.section	.AMDGPU.csdata,"",@progbits
; Kernel info:
; codeLenInByte = 2072
; TotalNumSgprs: 56
; NumVgprs: 25
; ScratchSize: 0
; MemoryBound: 0
; FloatMode: 240
; IeeeMode: 1
; LDSByteSize: 2048 bytes/workgroup (compile time only)
; SGPRBlocks: 6
; VGPRBlocks: 6
; NumSGPRsForWavesPerEU: 56
; NumVGPRsForWavesPerEU: 25
; Occupancy: 9
; WaveLimiterHint : 1
; COMPUTE_PGM_RSRC2:SCRATCH_EN: 0
; COMPUTE_PGM_RSRC2:USER_SGPR: 6
; COMPUTE_PGM_RSRC2:TRAP_HANDLER: 0
; COMPUTE_PGM_RSRC2:TGID_X_EN: 1
; COMPUTE_PGM_RSRC2:TGID_Y_EN: 0
; COMPUTE_PGM_RSRC2:TGID_Z_EN: 0
; COMPUTE_PGM_RSRC2:TIDIG_COMP_CNT: 0
	.section	.text._ZN9rocsparseL35csrgemm_symbolic_fill_block_per_rowILj128ELj16ELj256ELj137ELj32EliEEvT5_PKS1_S3_PKT4_S3_S6_S3_S6_S3_S6_PS1_21rocsparse_index_base_S8_S8_S8_bb,"axG",@progbits,_ZN9rocsparseL35csrgemm_symbolic_fill_block_per_rowILj128ELj16ELj256ELj137ELj32EliEEvT5_PKS1_S3_PKT4_S3_S6_S3_S6_S3_S6_PS1_21rocsparse_index_base_S8_S8_S8_bb,comdat
	.globl	_ZN9rocsparseL35csrgemm_symbolic_fill_block_per_rowILj128ELj16ELj256ELj137ELj32EliEEvT5_PKS1_S3_PKT4_S3_S6_S3_S6_S3_S6_PS1_21rocsparse_index_base_S8_S8_S8_bb ; -- Begin function _ZN9rocsparseL35csrgemm_symbolic_fill_block_per_rowILj128ELj16ELj256ELj137ELj32EliEEvT5_PKS1_S3_PKT4_S3_S6_S3_S6_S3_S6_PS1_21rocsparse_index_base_S8_S8_S8_bb
	.p2align	8
	.type	_ZN9rocsparseL35csrgemm_symbolic_fill_block_per_rowILj128ELj16ELj256ELj137ELj32EliEEvT5_PKS1_S3_PKT4_S3_S6_S3_S6_S3_S6_PS1_21rocsparse_index_base_S8_S8_S8_bb,@function
_ZN9rocsparseL35csrgemm_symbolic_fill_block_per_rowILj128ELj16ELj256ELj137ELj32EliEEvT5_PKS1_S3_PKT4_S3_S6_S3_S6_S3_S6_PS1_21rocsparse_index_base_S8_S8_S8_bb: ; @_ZN9rocsparseL35csrgemm_symbolic_fill_block_per_rowILj128ELj16ELj256ELj137ELj32EliEEvT5_PKS1_S3_PKT4_S3_S6_S3_S6_S3_S6_PS1_21rocsparse_index_base_S8_S8_S8_bb
; %bb.0:
	s_load_dwordx4 s[24:27], s[4:5], 0x48
	s_load_dwordx8 s[8:15], s[4:5], 0x28
	s_load_dword s33, s[4:5], 0x0
	s_load_dwordx8 s[16:23], s[4:5], 0x8
	s_movk_i32 s0, 0x100
	v_cmp_gt_u32_e64 s[0:1], s0, v0
	v_lshl_add_u32 v7, v0, 2, 0
	s_and_saveexec_b64 s[2:3], s[0:1]
	s_cbranch_execz .LBB28_3
; %bb.1:
	v_or_b32_e32 v1, 0xffffff80, v0
	v_lshl_add_u32 v2, v0, 2, 0
	s_mov_b64 s[28:29], 0
	s_waitcnt lgkmcnt(0)
	v_mov_b32_e32 v3, s33
.LBB28_2:                               ; =>This Inner Loop Header: Depth=1
	v_add_co_u32_e32 v1, vcc, 0x80, v1
	s_xor_b64 s[30:31], vcc, -1
	s_and_b64 s[30:31], exec, s[30:31]
	ds_write_b32 v2, v3
	s_or_b64 s[28:29], s[30:31], s[28:29]
	v_add_u32_e32 v2, 0x200, v2
	s_andn2_b64 exec, exec, s[28:29]
	s_cbranch_execnz .LBB28_2
.LBB28_3:
	s_or_b64 exec, exec, s[2:3]
	s_load_dword s44, s[4:5], 0x68
	s_waitcnt lgkmcnt(0)
	s_barrier
	s_load_dword s7, s[16:17], 0x0
	s_load_dwordx4 s[28:31], s[4:5], 0x58
	s_bitcmp1_b32 s44, 0
	s_cselect_b64 s[2:3], -1, 0
	s_mov_b32 s5, 0
	s_waitcnt lgkmcnt(0)
	s_add_i32 s4, s7, s6
	s_lshl_b64 s[4:5], s[4:5], 2
	s_add_u32 s4, s18, s4
	s_addc_u32 s5, s19, s5
	s_load_dword s16, s[4:5], 0x0
	s_and_b64 vcc, exec, s[2:3]
	s_cbranch_vccz .LBB28_19
; %bb.4:
	s_waitcnt lgkmcnt(0)
	s_ashr_i32 s17, s16, 31
	s_lshl_b64 s[2:3], s[16:17], 3
	s_add_u32 s2, s20, s2
	s_addc_u32 s3, s21, s3
	s_load_dwordx4 s[4:7], s[2:3], 0x0
	v_lshrrev_b32_e32 v1, 4, v0
	v_subrev_co_u32_e32 v1, vcc, s28, v1
	s_waitcnt lgkmcnt(0)
	s_sub_u32 s2, s6, s28
	s_subb_u32 s3, s7, 0
	v_subb_co_u32_e64 v2, s[6:7], 0, 0, vcc
	v_mov_b32_e32 v3, s5
	v_add_co_u32_e32 v1, vcc, s4, v1
	v_addc_co_u32_e32 v2, vcc, v3, v2, vcc
	v_cmp_gt_i64_e32 vcc, s[2:3], v[1:2]
	s_and_saveexec_b64 s[4:5], vcc
	s_cbranch_execz .LBB28_18
; %bb.5:
	v_and_b32_e32 v3, 15, v0
	v_subrev_co_u32_e32 v8, vcc, s29, v3
	v_subb_co_u32_e64 v9, s[6:7], 0, 0, vcc
	s_mov_b32 s17, s29
	s_mov_b64 s[6:7], 0
	v_mov_b32_e32 v10, s23
	v_mov_b32_e32 v11, s9
	s_movk_i32 s9, 0x89
	s_branch .LBB28_7
.LBB28_6:                               ;   in Loop: Header=BB28_7 Depth=1
	s_or_b64 exec, exec, s[18:19]
	v_add_co_u32_e32 v1, vcc, 8, v1
	v_addc_co_u32_e32 v2, vcc, 0, v2, vcc
	v_cmp_le_i64_e32 vcc, s[2:3], v[1:2]
	s_or_b64 s[6:7], vcc, s[6:7]
	s_andn2_b64 exec, exec, s[6:7]
	s_cbranch_execz .LBB28_18
.LBB28_7:                               ; =>This Loop Header: Depth=1
                                        ;     Child Loop BB28_10 Depth 2
                                        ;       Child Loop BB28_13 Depth 3
	v_lshlrev_b64 v[3:4], 2, v[1:2]
	v_add_co_u32_e32 v3, vcc, s22, v3
	v_addc_co_u32_e32 v4, vcc, v10, v4, vcc
	global_load_dword v3, v[3:4], off
	s_waitcnt vmcnt(0)
	v_subrev_u32_e32 v3, s28, v3
	v_ashrrev_i32_e32 v4, 31, v3
	v_lshlrev_b64 v[3:4], 3, v[3:4]
	v_add_co_u32_e32 v3, vcc, s8, v3
	v_addc_co_u32_e32 v4, vcc, v11, v4, vcc
	global_load_dwordx4 v[12:15], v[3:4], off
	s_waitcnt vmcnt(0)
	v_subrev_co_u32_e32 v3, vcc, s17, v14
	v_subbrev_co_u32_e32 v4, vcc, 0, v15, vcc
	v_add_co_u32_e32 v5, vcc, v12, v8
	v_addc_co_u32_e32 v6, vcc, v13, v9, vcc
	v_cmp_lt_i64_e32 vcc, v[5:6], v[3:4]
	s_and_saveexec_b64 s[18:19], vcc
	s_cbranch_execz .LBB28_6
; %bb.8:                                ;   in Loop: Header=BB28_7 Depth=1
	s_mov_b64 s[20:21], 0
	s_branch .LBB28_10
.LBB28_9:                               ;   in Loop: Header=BB28_10 Depth=2
	s_or_b64 exec, exec, s[34:35]
	v_add_co_u32_e32 v5, vcc, 16, v5
	v_addc_co_u32_e32 v6, vcc, 0, v6, vcc
	v_cmp_ge_i64_e32 vcc, v[5:6], v[3:4]
	s_or_b64 s[20:21], vcc, s[20:21]
	s_andn2_b64 exec, exec, s[20:21]
	s_cbranch_execz .LBB28_6
.LBB28_10:                              ;   Parent Loop BB28_7 Depth=1
                                        ; =>  This Loop Header: Depth=2
                                        ;       Child Loop BB28_13 Depth 3
	v_lshlrev_b64 v[12:13], 2, v[5:6]
	v_mov_b32_e32 v14, s11
	v_add_co_u32_e32 v12, vcc, s10, v12
	v_addc_co_u32_e32 v13, vcc, v14, v13, vcc
	global_load_dword v12, v[12:13], off
	s_mov_b64 s[34:35], 0
                                        ; implicit-def: $sgpr36_sgpr37
	s_waitcnt vmcnt(0)
	v_subrev_u32_e32 v12, s29, v12
	v_mul_lo_u32 v13, v12, s9
	v_and_b32_e32 v13, 0xff, v13
	s_branch .LBB28_13
.LBB28_11:                              ;   in Loop: Header=BB28_13 Depth=3
	s_or_b64 exec, exec, s[40:41]
	s_andn2_b64 s[36:37], s[36:37], exec
	s_and_b64 s[40:41], s[42:43], exec
	s_or_b64 s[36:37], s[36:37], s[40:41]
.LBB28_12:                              ;   in Loop: Header=BB28_13 Depth=3
	s_or_b64 exec, exec, s[38:39]
	s_xor_b64 s[38:39], s[36:37], -1
	s_and_b64 s[38:39], exec, s[38:39]
	s_or_b64 s[34:35], s[38:39], s[34:35]
	s_andn2_b64 exec, exec, s[34:35]
	s_cbranch_execz .LBB28_9
.LBB28_13:                              ;   Parent Loop BB28_7 Depth=1
                                        ;     Parent Loop BB28_10 Depth=2
                                        ; =>    This Inner Loop Header: Depth=3
	v_lshl_add_u32 v14, v13, 2, 0
	ds_read_b32 v15, v14
	s_andn2_b64 s[36:37], s[36:37], exec
	s_waitcnt lgkmcnt(0)
	v_cmp_ne_u32_e32 vcc, v15, v12
	s_and_saveexec_b64 s[38:39], vcc
	s_cbranch_execz .LBB28_12
; %bb.14:                               ;   in Loop: Header=BB28_13 Depth=3
	v_cmp_ne_u32_e32 vcc, s33, v15
	s_and_saveexec_b64 s[40:41], vcc
	s_xor_b64 s[40:41], exec, s[40:41]
; %bb.15:                               ;   in Loop: Header=BB28_13 Depth=3
	v_add_u32_e32 v13, 1, v13
	v_and_b32_e32 v13, 0xff, v13
                                        ; implicit-def: $vgpr14
; %bb.16:                               ;   in Loop: Header=BB28_13 Depth=3
	s_or_saveexec_b64 s[40:41], s[40:41]
	s_mov_b64 s[42:43], -1
	s_xor_b64 exec, exec, s[40:41]
	s_cbranch_execz .LBB28_11
; %bb.17:                               ;   in Loop: Header=BB28_13 Depth=3
	v_mov_b32_e32 v15, s33
	ds_cmpst_rtn_b32 v14, v14, v15, v12
	s_waitcnt lgkmcnt(0)
	v_cmp_ne_u32_e32 vcc, s33, v14
	s_orn2_b64 s[42:43], vcc, exec
	s_branch .LBB28_11
.LBB28_18:
	s_or_b64 exec, exec, s[4:5]
.LBB28_19:
	s_bfe_u32 s2, s44, 0x10008
	s_cmp_eq_u32 s2, 0
	s_cbranch_scc1 .LBB28_32
; %bb.20:
	s_waitcnt lgkmcnt(0)
	s_ashr_i32 s17, s16, 31
	s_lshl_b64 s[2:3], s[16:17], 3
	s_add_u32 s2, s12, s2
	s_addc_u32 s3, s13, s3
	s_load_dwordx4 s[4:7], s[2:3], 0x0
	v_subrev_co_u32_e32 v1, vcc, s31, v0
	v_subb_co_u32_e64 v2, s[2:3], 0, 0, vcc
	s_waitcnt lgkmcnt(0)
	s_sub_u32 s2, s6, s31
	v_mov_b32_e32 v3, s5
	v_add_co_u32_e32 v1, vcc, s4, v1
	s_subb_u32 s3, s7, 0
	v_addc_co_u32_e32 v2, vcc, v3, v2, vcc
	v_cmp_gt_i64_e32 vcc, s[2:3], v[1:2]
	s_and_saveexec_b64 s[4:5], vcc
	s_cbranch_execz .LBB28_31
; %bb.21:
	s_mov_b64 s[6:7], 0
	v_mov_b32_e32 v3, s15
	s_movk_i32 s15, 0x89
	s_branch .LBB28_23
.LBB28_22:                              ;   in Loop: Header=BB28_23 Depth=1
	s_or_b64 exec, exec, s[8:9]
	v_add_co_u32_e32 v1, vcc, 0x80, v1
	v_addc_co_u32_e32 v2, vcc, 0, v2, vcc
	v_cmp_le_i64_e32 vcc, s[2:3], v[1:2]
	s_or_b64 s[6:7], vcc, s[6:7]
	s_andn2_b64 exec, exec, s[6:7]
	s_cbranch_execz .LBB28_31
.LBB28_23:                              ; =>This Loop Header: Depth=1
                                        ;     Child Loop BB28_26 Depth 2
	v_lshlrev_b64 v[4:5], 2, v[1:2]
	s_mov_b64 s[8:9], 0
	v_add_co_u32_e32 v4, vcc, s14, v4
	v_addc_co_u32_e32 v5, vcc, v3, v5, vcc
	global_load_dword v4, v[4:5], off
                                        ; implicit-def: $sgpr10_sgpr11
	s_waitcnt vmcnt(0)
	v_subrev_u32_e32 v4, s31, v4
	v_mul_lo_u32 v5, v4, s15
	v_and_b32_e32 v5, 0xff, v5
	s_branch .LBB28_26
.LBB28_24:                              ;   in Loop: Header=BB28_26 Depth=2
	s_or_b64 exec, exec, s[18:19]
	s_andn2_b64 s[10:11], s[10:11], exec
	s_and_b64 s[18:19], s[20:21], exec
	s_or_b64 s[10:11], s[10:11], s[18:19]
.LBB28_25:                              ;   in Loop: Header=BB28_26 Depth=2
	s_or_b64 exec, exec, s[12:13]
	s_xor_b64 s[12:13], s[10:11], -1
	s_and_b64 s[12:13], exec, s[12:13]
	s_or_b64 s[8:9], s[12:13], s[8:9]
	s_andn2_b64 exec, exec, s[8:9]
	s_cbranch_execz .LBB28_22
.LBB28_26:                              ;   Parent Loop BB28_23 Depth=1
                                        ; =>  This Inner Loop Header: Depth=2
	v_lshl_add_u32 v6, v5, 2, 0
	ds_read_b32 v8, v6
	s_andn2_b64 s[10:11], s[10:11], exec
	s_waitcnt lgkmcnt(0)
	v_cmp_ne_u32_e32 vcc, v8, v4
	s_and_saveexec_b64 s[12:13], vcc
	s_cbranch_execz .LBB28_25
; %bb.27:                               ;   in Loop: Header=BB28_26 Depth=2
	v_cmp_ne_u32_e32 vcc, s33, v8
	s_and_saveexec_b64 s[18:19], vcc
	s_xor_b64 s[18:19], exec, s[18:19]
; %bb.28:                               ;   in Loop: Header=BB28_26 Depth=2
	v_add_u32_e32 v5, 1, v5
	v_and_b32_e32 v5, 0xff, v5
                                        ; implicit-def: $vgpr6
; %bb.29:                               ;   in Loop: Header=BB28_26 Depth=2
	s_or_saveexec_b64 s[18:19], s[18:19]
	s_mov_b64 s[20:21], -1
	s_xor_b64 exec, exec, s[18:19]
	s_cbranch_execz .LBB28_24
; %bb.30:                               ;   in Loop: Header=BB28_26 Depth=2
	v_mov_b32_e32 v8, s33
	ds_cmpst_rtn_b32 v6, v6, v8, v4
	s_waitcnt lgkmcnt(0)
	v_cmp_ne_u32_e32 vcc, s33, v6
	s_orn2_b64 s[20:21], vcc, exec
	s_branch .LBB28_24
.LBB28_31:
	s_or_b64 exec, exec, s[4:5]
.LBB28_32:
	s_waitcnt lgkmcnt(0)
	s_barrier
	s_and_saveexec_b64 s[8:9], s[0:1]
	s_cbranch_execz .LBB28_45
; %bb.33:
	v_mbcnt_lo_u32_b32 v1, -1, 0
	v_mbcnt_hi_u32_b32 v1, -1, v1
	v_sub_u32_e32 v1, 63, v1
	v_lshrrev_b32_e32 v4, 3, v0
	v_lshrrev_b64 v[1:2], v1, -1
	v_and_b32_e32 v4, 12, v4
	s_movk_i32 s0, 0x7f
	s_movk_i32 s6, 0x5f
	v_mov_b32_e32 v3, 0
	v_add_u32_e32 v4, 0, v4
	v_cmp_eq_u32_e64 s[0:1], s0, v0
	v_cmp_lt_u32_e64 s[2:3], 31, v0
	v_cmp_lt_u32_e64 s[4:5], 63, v0
	;; [unrolled: 1-line block ×3, first 2 shown]
	v_or_b32_e32 v5, 0xffffff80, v0
	s_mov_b64 s[10:11], 0
	v_mov_b32_e32 v6, 0
	s_branch .LBB28_35
.LBB28_34:                              ;   in Loop: Header=BB28_35 Depth=1
	s_or_b64 exec, exec, s[12:13]
	s_waitcnt lgkmcnt(0)
	s_barrier
	ds_read_b32 v8, v3 offset:1036
	v_add_co_u32_e32 v5, vcc, 0x80, v5
	s_xor_b64 s[12:13], vcc, -1
	s_and_b64 s[12:13], exec, s[12:13]
	s_waitcnt lgkmcnt(0)
	v_add_u32_e32 v6, v8, v6
	s_or_b64 s[10:11], s[12:13], s[10:11]
	v_add_u32_e32 v7, 0x200, v7
	s_andn2_b64 exec, exec, s[10:11]
	s_cbranch_execz .LBB28_45
.LBB28_35:                              ; =>This Inner Loop Header: Depth=1
	ds_read_b32 v8, v7
	s_waitcnt lgkmcnt(0)
	s_barrier
	v_cmp_gt_i32_e32 vcc, s33, v8
	v_and_b32_e32 v10, vcc_lo, v1
	s_bcnt1_i32_b64 s12, vcc
	v_and_b32_e32 v9, vcc_hi, v2
	v_bcnt_u32_b32 v10, v10, 0
	v_bcnt_u32_b32 v9, v9, v10
	v_mov_b32_e32 v10, s12
	ds_write_b32 v4, v10 offset:1024
	s_waitcnt lgkmcnt(0)
	s_barrier
	s_and_saveexec_b64 s[12:13], s[2:3]
	s_cbranch_execnz .LBB28_40
; %bb.36:                               ;   in Loop: Header=BB28_35 Depth=1
	s_or_b64 exec, exec, s[12:13]
	s_and_saveexec_b64 s[12:13], s[4:5]
	s_cbranch_execnz .LBB28_41
.LBB28_37:                              ;   in Loop: Header=BB28_35 Depth=1
	s_or_b64 exec, exec, s[12:13]
	s_and_saveexec_b64 s[12:13], s[6:7]
	s_cbranch_execnz .LBB28_42
.LBB28_38:                              ;   in Loop: Header=BB28_35 Depth=1
	s_or_b64 exec, exec, s[12:13]
	s_and_saveexec_b64 s[12:13], vcc
	s_cbranch_execnz .LBB28_43
.LBB28_39:                              ;   in Loop: Header=BB28_35 Depth=1
	s_or_b64 exec, exec, s[12:13]
	s_and_saveexec_b64 s[12:13], s[0:1]
	s_cbranch_execz .LBB28_34
	s_branch .LBB28_44
.LBB28_40:                              ;   in Loop: Header=BB28_35 Depth=1
	ds_read_b32 v10, v3 offset:1024
	s_waitcnt lgkmcnt(0)
	v_add_u32_e32 v9, v10, v9
	s_or_b64 exec, exec, s[12:13]
	s_and_saveexec_b64 s[12:13], s[4:5]
	s_cbranch_execz .LBB28_37
.LBB28_41:                              ;   in Loop: Header=BB28_35 Depth=1
	ds_read_b32 v10, v3 offset:1028
	s_waitcnt lgkmcnt(0)
	v_add_u32_e32 v9, v10, v9
	s_or_b64 exec, exec, s[12:13]
	s_and_saveexec_b64 s[12:13], s[6:7]
	s_cbranch_execz .LBB28_38
.LBB28_42:                              ;   in Loop: Header=BB28_35 Depth=1
	ds_read_b32 v10, v3 offset:1032
	s_waitcnt lgkmcnt(0)
	v_add_u32_e32 v9, v10, v9
	s_or_b64 exec, exec, s[12:13]
	s_and_saveexec_b64 s[12:13], vcc
	s_cbranch_execz .LBB28_39
.LBB28_43:                              ;   in Loop: Header=BB28_35 Depth=1
	v_lshlrev_b32_e32 v10, 2, v6
	v_add_u32_e32 v10, 0, v10
	v_lshlrev_b32_e32 v11, 2, v9
	v_add3_u32 v10, v10, v11, -4
	ds_write_b32 v10, v8
	s_or_b64 exec, exec, s[12:13]
	s_and_saveexec_b64 s[12:13], s[0:1]
	s_cbranch_execz .LBB28_34
.LBB28_44:                              ;   in Loop: Header=BB28_35 Depth=1
	ds_write_b32 v3, v9 offset:1036
	s_branch .LBB28_34
.LBB28_45:
	s_or_b64 exec, exec, s[8:9]
	s_ashr_i32 s17, s16, 31
	s_lshl_b64 s[0:1], s[16:17], 3
	s_add_u32 s4, s24, s0
	s_addc_u32 s5, s25, s1
	s_load_dwordx4 s[0:3], s[4:5], 0x0
	s_waitcnt lgkmcnt(0)
	s_sub_i32 s8, s2, s0
	v_cmp_gt_i32_e32 vcc, s8, v0
	s_and_saveexec_b64 s[4:5], vcc
	s_cbranch_execz .LBB28_55
; %bb.46:
	s_sub_u32 s4, s0, s30
	s_subb_u32 s5, s1, 0
	s_and_b32 s9, s8, 7
	s_sub_i32 s0, s0, s2
	s_cmp_lt_u32 s0, -7
	s_cselect_b64 s[0:1], -1, 0
	s_and_b32 s10, s8, -8
	s_cmp_lg_u32 s9, 0
	v_cndmask_b32_e64 v1, 0, 1, s[0:1]
	s_mov_b64 s[2:3], 0
	s_cselect_b64 s[6:7], -1, 0
	v_cmp_ne_u32_e64 s[0:1], 1, v1
	s_branch .LBB28_48
.LBB28_47:                              ;   in Loop: Header=BB28_48 Depth=1
	v_lshlrev_b64 v[1:2], 2, v[1:2]
	v_mov_b32_e32 v4, s27
	v_add_co_u32_e32 v1, vcc, s26, v1
	v_addc_co_u32_e32 v2, vcc, v4, v2, vcc
	v_add_u32_e32 v0, 0x80, v0
	v_cmp_le_i32_e32 vcc, s8, v0
	s_waitcnt lgkmcnt(0)
	v_add_u32_e32 v3, s30, v3
	s_or_b64 s[2:3], vcc, s[2:3]
	global_store_dword v[1:2], v3, off
	s_andn2_b64 exec, exec, s[2:3]
	s_cbranch_execz .LBB28_55
.LBB28_48:                              ; =>This Loop Header: Depth=1
                                        ;     Child Loop BB28_50 Depth 2
                                        ;     Child Loop BB28_54 Depth 2
	v_lshl_add_u32 v1, v0, 2, 0
	ds_read_b32 v3, v1
	v_mov_b32_e32 v1, s4
	s_and_b64 vcc, exec, s[0:1]
	v_mov_b32_e32 v2, s5
	s_mov_b32 s11, 0
	s_cbranch_vccnz .LBB28_52
; %bb.49:                               ;   in Loop: Header=BB28_48 Depth=1
	v_mov_b32_e32 v1, s4
	s_mov_b32 s12, 0
	v_mov_b32_e32 v2, s5
.LBB28_50:                              ;   Parent Loop BB28_48 Depth=1
                                        ; =>  This Inner Loop Header: Depth=2
	v_mov_b32_e32 v10, s12
	ds_read2_b32 v[4:5], v10 offset1:1
	ds_read2_b32 v[6:7], v10 offset0:2 offset1:3
	ds_read2_b32 v[8:9], v10 offset0:4 offset1:5
	;; [unrolled: 1-line block ×3, first 2 shown]
	s_add_i32 s11, s11, 8
	s_waitcnt lgkmcnt(3)
	v_cmp_gt_i32_e32 vcc, v3, v4
	v_cndmask_b32_e64 v4, 0, 1, vcc
	v_cmp_gt_i32_e32 vcc, v3, v5
	v_cndmask_b32_e64 v5, 0, 1, vcc
	s_waitcnt lgkmcnt(2)
	v_cmp_gt_i32_e32 vcc, v3, v6
	v_cndmask_b32_e64 v6, 0, 1, vcc
	v_cmp_gt_i32_e32 vcc, v3, v7
	v_cndmask_b32_e64 v7, 0, 1, vcc
	;; [unrolled: 5-line block ×4, first 2 shown]
	v_add_co_u32_e32 v1, vcc, v1, v4
	v_addc_co_u32_e32 v2, vcc, 0, v2, vcc
	v_add_co_u32_e32 v1, vcc, v1, v5
	v_addc_co_u32_e32 v2, vcc, 0, v2, vcc
	;; [unrolled: 2-line block ×7, first 2 shown]
	s_add_i32 s12, s12, 32
	v_add_co_u32_e32 v1, vcc, v1, v11
	s_cmp_eq_u32 s10, s11
	v_addc_co_u32_e32 v2, vcc, 0, v2, vcc
	s_cbranch_scc0 .LBB28_50
; %bb.51:                               ;   in Loop: Header=BB28_48 Depth=1
	s_mov_b32 s11, s10
.LBB28_52:                              ;   in Loop: Header=BB28_48 Depth=1
	s_andn2_b64 vcc, exec, s[6:7]
	s_cbranch_vccnz .LBB28_47
; %bb.53:                               ;   in Loop: Header=BB28_48 Depth=1
	s_lshl_b32 s11, s11, 2
	s_add_i32 s11, s11, 0
	s_mov_b32 s12, s9
.LBB28_54:                              ;   Parent Loop BB28_48 Depth=1
                                        ; =>  This Inner Loop Header: Depth=2
	v_mov_b32_e32 v4, s11
	ds_read_b32 v4, v4
	s_add_i32 s11, s11, 4
	s_add_i32 s12, s12, -1
	s_cmp_lg_u32 s12, 0
	s_waitcnt lgkmcnt(0)
	v_cmp_gt_i32_e32 vcc, v3, v4
	v_cndmask_b32_e64 v4, 0, 1, vcc
	v_add_co_u32_e32 v1, vcc, v1, v4
	v_addc_co_u32_e32 v2, vcc, 0, v2, vcc
	s_cbranch_scc1 .LBB28_54
	s_branch .LBB28_47
.LBB28_55:
	s_endpgm
	.section	.rodata,"a",@progbits
	.p2align	6, 0x0
	.amdhsa_kernel _ZN9rocsparseL35csrgemm_symbolic_fill_block_per_rowILj128ELj16ELj256ELj137ELj32EliEEvT5_PKS1_S3_PKT4_S3_S6_S3_S6_S3_S6_PS1_21rocsparse_index_base_S8_S8_S8_bb
		.amdhsa_group_segment_fixed_size 0
		.amdhsa_private_segment_fixed_size 0
		.amdhsa_kernarg_size 108
		.amdhsa_user_sgpr_count 6
		.amdhsa_user_sgpr_private_segment_buffer 1
		.amdhsa_user_sgpr_dispatch_ptr 0
		.amdhsa_user_sgpr_queue_ptr 0
		.amdhsa_user_sgpr_kernarg_segment_ptr 1
		.amdhsa_user_sgpr_dispatch_id 0
		.amdhsa_user_sgpr_flat_scratch_init 0
		.amdhsa_user_sgpr_private_segment_size 0
		.amdhsa_uses_dynamic_stack 0
		.amdhsa_system_sgpr_private_segment_wavefront_offset 0
		.amdhsa_system_sgpr_workgroup_id_x 1
		.amdhsa_system_sgpr_workgroup_id_y 0
		.amdhsa_system_sgpr_workgroup_id_z 0
		.amdhsa_system_sgpr_workgroup_info 0
		.amdhsa_system_vgpr_workitem_id 0
		.amdhsa_next_free_vgpr 16
		.amdhsa_next_free_sgpr 45
		.amdhsa_reserve_vcc 1
		.amdhsa_reserve_flat_scratch 0
		.amdhsa_float_round_mode_32 0
		.amdhsa_float_round_mode_16_64 0
		.amdhsa_float_denorm_mode_32 3
		.amdhsa_float_denorm_mode_16_64 3
		.amdhsa_dx10_clamp 1
		.amdhsa_ieee_mode 1
		.amdhsa_fp16_overflow 0
		.amdhsa_exception_fp_ieee_invalid_op 0
		.amdhsa_exception_fp_denorm_src 0
		.amdhsa_exception_fp_ieee_div_zero 0
		.amdhsa_exception_fp_ieee_overflow 0
		.amdhsa_exception_fp_ieee_underflow 0
		.amdhsa_exception_fp_ieee_inexact 0
		.amdhsa_exception_int_div_zero 0
	.end_amdhsa_kernel
	.section	.text._ZN9rocsparseL35csrgemm_symbolic_fill_block_per_rowILj128ELj16ELj256ELj137ELj32EliEEvT5_PKS1_S3_PKT4_S3_S6_S3_S6_S3_S6_PS1_21rocsparse_index_base_S8_S8_S8_bb,"axG",@progbits,_ZN9rocsparseL35csrgemm_symbolic_fill_block_per_rowILj128ELj16ELj256ELj137ELj32EliEEvT5_PKS1_S3_PKT4_S3_S6_S3_S6_S3_S6_PS1_21rocsparse_index_base_S8_S8_S8_bb,comdat
.Lfunc_end28:
	.size	_ZN9rocsparseL35csrgemm_symbolic_fill_block_per_rowILj128ELj16ELj256ELj137ELj32EliEEvT5_PKS1_S3_PKT4_S3_S6_S3_S6_S3_S6_PS1_21rocsparse_index_base_S8_S8_S8_bb, .Lfunc_end28-_ZN9rocsparseL35csrgemm_symbolic_fill_block_per_rowILj128ELj16ELj256ELj137ELj32EliEEvT5_PKS1_S3_PKT4_S3_S6_S3_S6_S3_S6_PS1_21rocsparse_index_base_S8_S8_S8_bb
                                        ; -- End function
	.set _ZN9rocsparseL35csrgemm_symbolic_fill_block_per_rowILj128ELj16ELj256ELj137ELj32EliEEvT5_PKS1_S3_PKT4_S3_S6_S3_S6_S3_S6_PS1_21rocsparse_index_base_S8_S8_S8_bb.num_vgpr, 16
	.set _ZN9rocsparseL35csrgemm_symbolic_fill_block_per_rowILj128ELj16ELj256ELj137ELj32EliEEvT5_PKS1_S3_PKT4_S3_S6_S3_S6_S3_S6_PS1_21rocsparse_index_base_S8_S8_S8_bb.num_agpr, 0
	.set _ZN9rocsparseL35csrgemm_symbolic_fill_block_per_rowILj128ELj16ELj256ELj137ELj32EliEEvT5_PKS1_S3_PKT4_S3_S6_S3_S6_S3_S6_PS1_21rocsparse_index_base_S8_S8_S8_bb.numbered_sgpr, 45
	.set _ZN9rocsparseL35csrgemm_symbolic_fill_block_per_rowILj128ELj16ELj256ELj137ELj32EliEEvT5_PKS1_S3_PKT4_S3_S6_S3_S6_S3_S6_PS1_21rocsparse_index_base_S8_S8_S8_bb.num_named_barrier, 0
	.set _ZN9rocsparseL35csrgemm_symbolic_fill_block_per_rowILj128ELj16ELj256ELj137ELj32EliEEvT5_PKS1_S3_PKT4_S3_S6_S3_S6_S3_S6_PS1_21rocsparse_index_base_S8_S8_S8_bb.private_seg_size, 0
	.set _ZN9rocsparseL35csrgemm_symbolic_fill_block_per_rowILj128ELj16ELj256ELj137ELj32EliEEvT5_PKS1_S3_PKT4_S3_S6_S3_S6_S3_S6_PS1_21rocsparse_index_base_S8_S8_S8_bb.uses_vcc, 1
	.set _ZN9rocsparseL35csrgemm_symbolic_fill_block_per_rowILj128ELj16ELj256ELj137ELj32EliEEvT5_PKS1_S3_PKT4_S3_S6_S3_S6_S3_S6_PS1_21rocsparse_index_base_S8_S8_S8_bb.uses_flat_scratch, 0
	.set _ZN9rocsparseL35csrgemm_symbolic_fill_block_per_rowILj128ELj16ELj256ELj137ELj32EliEEvT5_PKS1_S3_PKT4_S3_S6_S3_S6_S3_S6_PS1_21rocsparse_index_base_S8_S8_S8_bb.has_dyn_sized_stack, 0
	.set _ZN9rocsparseL35csrgemm_symbolic_fill_block_per_rowILj128ELj16ELj256ELj137ELj32EliEEvT5_PKS1_S3_PKT4_S3_S6_S3_S6_S3_S6_PS1_21rocsparse_index_base_S8_S8_S8_bb.has_recursion, 0
	.set _ZN9rocsparseL35csrgemm_symbolic_fill_block_per_rowILj128ELj16ELj256ELj137ELj32EliEEvT5_PKS1_S3_PKT4_S3_S6_S3_S6_S3_S6_PS1_21rocsparse_index_base_S8_S8_S8_bb.has_indirect_call, 0
	.section	.AMDGPU.csdata,"",@progbits
; Kernel info:
; codeLenInByte = 2020
; TotalNumSgprs: 49
; NumVgprs: 16
; ScratchSize: 0
; MemoryBound: 0
; FloatMode: 240
; IeeeMode: 1
; LDSByteSize: 0 bytes/workgroup (compile time only)
; SGPRBlocks: 6
; VGPRBlocks: 3
; NumSGPRsForWavesPerEU: 49
; NumVGPRsForWavesPerEU: 16
; Occupancy: 10
; WaveLimiterHint : 1
; COMPUTE_PGM_RSRC2:SCRATCH_EN: 0
; COMPUTE_PGM_RSRC2:USER_SGPR: 6
; COMPUTE_PGM_RSRC2:TRAP_HANDLER: 0
; COMPUTE_PGM_RSRC2:TGID_X_EN: 1
; COMPUTE_PGM_RSRC2:TGID_Y_EN: 0
; COMPUTE_PGM_RSRC2:TGID_Z_EN: 0
; COMPUTE_PGM_RSRC2:TIDIG_COMP_CNT: 0
	.section	.text._ZN9rocsparseL35csrgemm_symbolic_fill_block_per_rowILj128ELj16ELj256ELj137ELj64EliEEvT5_PKS1_S3_PKT4_S3_S6_S3_S6_S3_S6_PS1_21rocsparse_index_base_S8_S8_S8_bb,"axG",@progbits,_ZN9rocsparseL35csrgemm_symbolic_fill_block_per_rowILj128ELj16ELj256ELj137ELj64EliEEvT5_PKS1_S3_PKT4_S3_S6_S3_S6_S3_S6_PS1_21rocsparse_index_base_S8_S8_S8_bb,comdat
	.globl	_ZN9rocsparseL35csrgemm_symbolic_fill_block_per_rowILj128ELj16ELj256ELj137ELj64EliEEvT5_PKS1_S3_PKT4_S3_S6_S3_S6_S3_S6_PS1_21rocsparse_index_base_S8_S8_S8_bb ; -- Begin function _ZN9rocsparseL35csrgemm_symbolic_fill_block_per_rowILj128ELj16ELj256ELj137ELj64EliEEvT5_PKS1_S3_PKT4_S3_S6_S3_S6_S3_S6_PS1_21rocsparse_index_base_S8_S8_S8_bb
	.p2align	8
	.type	_ZN9rocsparseL35csrgemm_symbolic_fill_block_per_rowILj128ELj16ELj256ELj137ELj64EliEEvT5_PKS1_S3_PKT4_S3_S6_S3_S6_S3_S6_PS1_21rocsparse_index_base_S8_S8_S8_bb,@function
_ZN9rocsparseL35csrgemm_symbolic_fill_block_per_rowILj128ELj16ELj256ELj137ELj64EliEEvT5_PKS1_S3_PKT4_S3_S6_S3_S6_S3_S6_PS1_21rocsparse_index_base_S8_S8_S8_bb: ; @_ZN9rocsparseL35csrgemm_symbolic_fill_block_per_rowILj128ELj16ELj256ELj137ELj64EliEEvT5_PKS1_S3_PKT4_S3_S6_S3_S6_S3_S6_PS1_21rocsparse_index_base_S8_S8_S8_bb
; %bb.0:
	s_load_dwordx4 s[24:27], s[4:5], 0x48
	s_load_dwordx8 s[8:15], s[4:5], 0x28
	s_load_dword s33, s[4:5], 0x0
	s_load_dwordx8 s[16:23], s[4:5], 0x8
	s_movk_i32 s0, 0x100
	v_cmp_gt_u32_e64 s[0:1], s0, v0
	v_lshl_add_u32 v7, v0, 2, 0
	s_and_saveexec_b64 s[2:3], s[0:1]
	s_cbranch_execz .LBB29_3
; %bb.1:
	v_or_b32_e32 v1, 0xffffff80, v0
	v_lshl_add_u32 v2, v0, 2, 0
	s_mov_b64 s[28:29], 0
	s_waitcnt lgkmcnt(0)
	v_mov_b32_e32 v3, s33
.LBB29_2:                               ; =>This Inner Loop Header: Depth=1
	v_add_co_u32_e32 v1, vcc, 0x80, v1
	s_xor_b64 s[30:31], vcc, -1
	s_and_b64 s[30:31], exec, s[30:31]
	ds_write_b32 v2, v3
	s_or_b64 s[28:29], s[30:31], s[28:29]
	v_add_u32_e32 v2, 0x200, v2
	s_andn2_b64 exec, exec, s[28:29]
	s_cbranch_execnz .LBB29_2
.LBB29_3:
	s_or_b64 exec, exec, s[2:3]
	s_load_dword s44, s[4:5], 0x68
	s_waitcnt lgkmcnt(0)
	s_barrier
	s_load_dword s7, s[16:17], 0x0
	s_load_dwordx4 s[28:31], s[4:5], 0x58
	s_bitcmp1_b32 s44, 0
	s_cselect_b64 s[2:3], -1, 0
	s_mov_b32 s5, 0
	s_waitcnt lgkmcnt(0)
	s_add_i32 s4, s7, s6
	s_lshl_b64 s[4:5], s[4:5], 2
	s_add_u32 s4, s18, s4
	s_addc_u32 s5, s19, s5
	s_load_dword s4, s[4:5], 0x0
	s_and_b64 vcc, exec, s[2:3]
	v_lshrrev_b32_e32 v8, 4, v0
	s_cbranch_vccz .LBB29_19
; %bb.4:
	s_waitcnt lgkmcnt(0)
	s_ashr_i32 s5, s4, 31
	s_lshl_b64 s[2:3], s[4:5], 3
	s_add_u32 s2, s20, s2
	s_addc_u32 s3, s21, s3
	s_load_dwordx4 s[16:19], s[2:3], 0x0
	v_subrev_co_u32_e32 v1, vcc, s28, v8
	v_subb_co_u32_e64 v2, s[2:3], 0, 0, vcc
	s_waitcnt lgkmcnt(0)
	s_sub_u32 s2, s18, s28
	v_mov_b32_e32 v3, s17
	v_add_co_u32_e32 v1, vcc, s16, v1
	s_subb_u32 s3, s19, 0
	v_addc_co_u32_e32 v2, vcc, v3, v2, vcc
	v_cmp_gt_i64_e32 vcc, s[2:3], v[1:2]
	s_and_saveexec_b64 s[6:7], vcc
	s_cbranch_execz .LBB29_18
; %bb.5:
	v_and_b32_e32 v3, 15, v0
	v_subrev_co_u32_e32 v9, vcc, s29, v3
	v_subb_co_u32_e64 v10, s[16:17], 0, 0, vcc
	s_mov_b32 s5, s29
	s_mov_b64 s[16:17], 0
	v_mov_b32_e32 v11, s23
	v_mov_b32_e32 v12, s9
	s_movk_i32 s9, 0x89
	s_branch .LBB29_7
.LBB29_6:                               ;   in Loop: Header=BB29_7 Depth=1
	s_or_b64 exec, exec, s[18:19]
	v_add_co_u32_e32 v1, vcc, 8, v1
	v_addc_co_u32_e32 v2, vcc, 0, v2, vcc
	v_cmp_le_i64_e32 vcc, s[2:3], v[1:2]
	s_or_b64 s[16:17], vcc, s[16:17]
	s_andn2_b64 exec, exec, s[16:17]
	s_cbranch_execz .LBB29_18
.LBB29_7:                               ; =>This Loop Header: Depth=1
                                        ;     Child Loop BB29_10 Depth 2
                                        ;       Child Loop BB29_13 Depth 3
	v_lshlrev_b64 v[3:4], 2, v[1:2]
	v_add_co_u32_e32 v3, vcc, s22, v3
	v_addc_co_u32_e32 v4, vcc, v11, v4, vcc
	global_load_dword v3, v[3:4], off
	s_waitcnt vmcnt(0)
	v_subrev_u32_e32 v3, s28, v3
	v_ashrrev_i32_e32 v4, 31, v3
	v_lshlrev_b64 v[3:4], 3, v[3:4]
	v_add_co_u32_e32 v3, vcc, s8, v3
	v_addc_co_u32_e32 v4, vcc, v12, v4, vcc
	global_load_dwordx4 v[13:16], v[3:4], off
	s_waitcnt vmcnt(0)
	v_subrev_co_u32_e32 v3, vcc, s5, v15
	v_subbrev_co_u32_e32 v4, vcc, 0, v16, vcc
	v_add_co_u32_e32 v5, vcc, v13, v9
	v_addc_co_u32_e32 v6, vcc, v14, v10, vcc
	v_cmp_lt_i64_e32 vcc, v[5:6], v[3:4]
	s_and_saveexec_b64 s[18:19], vcc
	s_cbranch_execz .LBB29_6
; %bb.8:                                ;   in Loop: Header=BB29_7 Depth=1
	s_mov_b64 s[20:21], 0
	s_branch .LBB29_10
.LBB29_9:                               ;   in Loop: Header=BB29_10 Depth=2
	s_or_b64 exec, exec, s[34:35]
	v_add_co_u32_e32 v5, vcc, 16, v5
	v_addc_co_u32_e32 v6, vcc, 0, v6, vcc
	v_cmp_ge_i64_e32 vcc, v[5:6], v[3:4]
	s_or_b64 s[20:21], vcc, s[20:21]
	s_andn2_b64 exec, exec, s[20:21]
	s_cbranch_execz .LBB29_6
.LBB29_10:                              ;   Parent Loop BB29_7 Depth=1
                                        ; =>  This Loop Header: Depth=2
                                        ;       Child Loop BB29_13 Depth 3
	v_lshlrev_b64 v[13:14], 2, v[5:6]
	v_mov_b32_e32 v15, s11
	v_add_co_u32_e32 v13, vcc, s10, v13
	v_addc_co_u32_e32 v14, vcc, v15, v14, vcc
	global_load_dword v13, v[13:14], off
	s_mov_b64 s[34:35], 0
                                        ; implicit-def: $sgpr36_sgpr37
	s_waitcnt vmcnt(0)
	v_subrev_u32_e32 v13, s29, v13
	v_mul_lo_u32 v14, v13, s9
	v_and_b32_e32 v14, 0xff, v14
	s_branch .LBB29_13
.LBB29_11:                              ;   in Loop: Header=BB29_13 Depth=3
	s_or_b64 exec, exec, s[40:41]
	s_andn2_b64 s[36:37], s[36:37], exec
	s_and_b64 s[40:41], s[42:43], exec
	s_or_b64 s[36:37], s[36:37], s[40:41]
.LBB29_12:                              ;   in Loop: Header=BB29_13 Depth=3
	s_or_b64 exec, exec, s[38:39]
	s_xor_b64 s[38:39], s[36:37], -1
	s_and_b64 s[38:39], exec, s[38:39]
	s_or_b64 s[34:35], s[38:39], s[34:35]
	s_andn2_b64 exec, exec, s[34:35]
	s_cbranch_execz .LBB29_9
.LBB29_13:                              ;   Parent Loop BB29_7 Depth=1
                                        ;     Parent Loop BB29_10 Depth=2
                                        ; =>    This Inner Loop Header: Depth=3
	v_lshl_add_u32 v15, v14, 2, 0
	ds_read_b32 v16, v15
	s_andn2_b64 s[36:37], s[36:37], exec
	s_waitcnt lgkmcnt(0)
	v_cmp_ne_u32_e32 vcc, v16, v13
	s_and_saveexec_b64 s[38:39], vcc
	s_cbranch_execz .LBB29_12
; %bb.14:                               ;   in Loop: Header=BB29_13 Depth=3
	v_cmp_ne_u32_e32 vcc, s33, v16
	s_and_saveexec_b64 s[40:41], vcc
	s_xor_b64 s[40:41], exec, s[40:41]
; %bb.15:                               ;   in Loop: Header=BB29_13 Depth=3
	v_add_u32_e32 v14, 1, v14
	v_and_b32_e32 v14, 0xff, v14
                                        ; implicit-def: $vgpr15
; %bb.16:                               ;   in Loop: Header=BB29_13 Depth=3
	s_or_saveexec_b64 s[40:41], s[40:41]
	s_mov_b64 s[42:43], -1
	s_xor_b64 exec, exec, s[40:41]
	s_cbranch_execz .LBB29_11
; %bb.17:                               ;   in Loop: Header=BB29_13 Depth=3
	v_mov_b32_e32 v16, s33
	ds_cmpst_rtn_b32 v15, v15, v16, v13
	s_waitcnt lgkmcnt(0)
	v_cmp_ne_u32_e32 vcc, s33, v15
	s_orn2_b64 s[42:43], vcc, exec
	s_branch .LBB29_11
.LBB29_18:
	s_or_b64 exec, exec, s[6:7]
.LBB29_19:
	s_bfe_u32 s2, s44, 0x10008
	s_cmp_eq_u32 s2, 0
	s_cbranch_scc1 .LBB29_32
; %bb.20:
	s_waitcnt lgkmcnt(0)
	s_ashr_i32 s5, s4, 31
	s_lshl_b64 s[2:3], s[4:5], 3
	s_add_u32 s2, s12, s2
	s_addc_u32 s3, s13, s3
	s_load_dwordx4 s[8:11], s[2:3], 0x0
	v_subrev_co_u32_e32 v1, vcc, s31, v0
	v_subb_co_u32_e64 v2, s[2:3], 0, 0, vcc
	s_waitcnt lgkmcnt(0)
	s_sub_u32 s2, s10, s31
	v_mov_b32_e32 v3, s9
	v_add_co_u32_e32 v1, vcc, s8, v1
	s_subb_u32 s3, s11, 0
	v_addc_co_u32_e32 v2, vcc, v3, v2, vcc
	v_cmp_gt_i64_e32 vcc, s[2:3], v[1:2]
	s_and_saveexec_b64 s[6:7], vcc
	s_cbranch_execz .LBB29_31
; %bb.21:
	s_mov_b64 s[8:9], 0
	v_mov_b32_e32 v3, s15
	s_movk_i32 s5, 0x89
	s_branch .LBB29_23
.LBB29_22:                              ;   in Loop: Header=BB29_23 Depth=1
	s_or_b64 exec, exec, s[10:11]
	v_add_co_u32_e32 v1, vcc, 0x80, v1
	v_addc_co_u32_e32 v2, vcc, 0, v2, vcc
	v_cmp_le_i64_e32 vcc, s[2:3], v[1:2]
	s_or_b64 s[8:9], vcc, s[8:9]
	s_andn2_b64 exec, exec, s[8:9]
	s_cbranch_execz .LBB29_31
.LBB29_23:                              ; =>This Loop Header: Depth=1
                                        ;     Child Loop BB29_26 Depth 2
	v_lshlrev_b64 v[4:5], 2, v[1:2]
	s_mov_b64 s[10:11], 0
	v_add_co_u32_e32 v4, vcc, s14, v4
	v_addc_co_u32_e32 v5, vcc, v3, v5, vcc
	global_load_dword v4, v[4:5], off
                                        ; implicit-def: $sgpr12_sgpr13
	s_waitcnt vmcnt(0)
	v_subrev_u32_e32 v4, s31, v4
	v_mul_lo_u32 v5, v4, s5
	v_and_b32_e32 v5, 0xff, v5
	s_branch .LBB29_26
.LBB29_24:                              ;   in Loop: Header=BB29_26 Depth=2
	s_or_b64 exec, exec, s[18:19]
	s_andn2_b64 s[12:13], s[12:13], exec
	s_and_b64 s[18:19], s[20:21], exec
	s_or_b64 s[12:13], s[12:13], s[18:19]
.LBB29_25:                              ;   in Loop: Header=BB29_26 Depth=2
	s_or_b64 exec, exec, s[16:17]
	s_xor_b64 s[16:17], s[12:13], -1
	s_and_b64 s[16:17], exec, s[16:17]
	s_or_b64 s[10:11], s[16:17], s[10:11]
	s_andn2_b64 exec, exec, s[10:11]
	s_cbranch_execz .LBB29_22
.LBB29_26:                              ;   Parent Loop BB29_23 Depth=1
                                        ; =>  This Inner Loop Header: Depth=2
	v_lshl_add_u32 v6, v5, 2, 0
	ds_read_b32 v9, v6
	s_andn2_b64 s[12:13], s[12:13], exec
	s_waitcnt lgkmcnt(0)
	v_cmp_ne_u32_e32 vcc, v9, v4
	s_and_saveexec_b64 s[16:17], vcc
	s_cbranch_execz .LBB29_25
; %bb.27:                               ;   in Loop: Header=BB29_26 Depth=2
	v_cmp_ne_u32_e32 vcc, s33, v9
	s_and_saveexec_b64 s[18:19], vcc
	s_xor_b64 s[18:19], exec, s[18:19]
; %bb.28:                               ;   in Loop: Header=BB29_26 Depth=2
	v_add_u32_e32 v5, 1, v5
	v_and_b32_e32 v5, 0xff, v5
                                        ; implicit-def: $vgpr6
; %bb.29:                               ;   in Loop: Header=BB29_26 Depth=2
	s_or_saveexec_b64 s[18:19], s[18:19]
	s_mov_b64 s[20:21], -1
	s_xor_b64 exec, exec, s[18:19]
	s_cbranch_execz .LBB29_24
; %bb.30:                               ;   in Loop: Header=BB29_26 Depth=2
	v_mov_b32_e32 v9, s33
	ds_cmpst_rtn_b32 v6, v6, v9, v4
	s_waitcnt lgkmcnt(0)
	v_cmp_ne_u32_e32 vcc, s33, v6
	s_orn2_b64 s[20:21], vcc, exec
	s_branch .LBB29_24
.LBB29_31:
	s_or_b64 exec, exec, s[6:7]
.LBB29_32:
	s_waitcnt lgkmcnt(0)
	s_barrier
	s_and_saveexec_b64 s[6:7], s[0:1]
	s_cbranch_execz .LBB29_41
; %bb.33:
	v_mbcnt_lo_u32_b32 v1, -1, 0
	v_mbcnt_hi_u32_b32 v1, -1, v1
	v_sub_u32_e32 v1, 63, v1
	v_lshrrev_b64 v[1:2], v1, -1
	v_and_b32_e32 v4, 4, v8
	s_movk_i32 s2, 0x7f
	v_mov_b32_e32 v3, 0
	v_add_u32_e32 v4, 0, v4
	v_cmp_lt_u32_e64 s[0:1], 63, v0
	v_cmp_eq_u32_e64 s[2:3], s2, v0
	v_or_b32_e32 v5, 0xffffff80, v0
	s_mov_b64 s[8:9], 0
	v_mov_b32_e32 v6, 0
	s_branch .LBB29_35
.LBB29_34:                              ;   in Loop: Header=BB29_35 Depth=1
	s_or_b64 exec, exec, s[10:11]
	s_waitcnt lgkmcnt(0)
	s_barrier
	ds_read_b32 v8, v3 offset:1028
	v_add_co_u32_e32 v5, vcc, 0x80, v5
	s_xor_b64 s[10:11], vcc, -1
	s_and_b64 s[10:11], exec, s[10:11]
	s_waitcnt lgkmcnt(0)
	v_add_u32_e32 v6, v8, v6
	s_or_b64 s[8:9], s[10:11], s[8:9]
	v_add_u32_e32 v7, 0x200, v7
	s_andn2_b64 exec, exec, s[8:9]
	s_cbranch_execz .LBB29_41
.LBB29_35:                              ; =>This Inner Loop Header: Depth=1
	ds_read_b32 v8, v7
	s_waitcnt lgkmcnt(0)
	s_barrier
	v_cmp_gt_i32_e32 vcc, s33, v8
	v_and_b32_e32 v10, vcc_lo, v1
	s_bcnt1_i32_b64 s5, vcc
	v_and_b32_e32 v9, vcc_hi, v2
	v_bcnt_u32_b32 v10, v10, 0
	v_bcnt_u32_b32 v9, v9, v10
	v_mov_b32_e32 v10, s5
	ds_write_b32 v4, v10 offset:1024
	s_waitcnt lgkmcnt(0)
	s_barrier
	s_and_saveexec_b64 s[10:11], s[0:1]
	s_cbranch_execnz .LBB29_38
; %bb.36:                               ;   in Loop: Header=BB29_35 Depth=1
	s_or_b64 exec, exec, s[10:11]
	s_and_saveexec_b64 s[10:11], vcc
	s_cbranch_execnz .LBB29_39
.LBB29_37:                              ;   in Loop: Header=BB29_35 Depth=1
	s_or_b64 exec, exec, s[10:11]
	s_and_saveexec_b64 s[10:11], s[2:3]
	s_cbranch_execz .LBB29_34
	s_branch .LBB29_40
.LBB29_38:                              ;   in Loop: Header=BB29_35 Depth=1
	ds_read_b32 v10, v3 offset:1024
	s_waitcnt lgkmcnt(0)
	v_add_u32_e32 v9, v10, v9
	s_or_b64 exec, exec, s[10:11]
	s_and_saveexec_b64 s[10:11], vcc
	s_cbranch_execz .LBB29_37
.LBB29_39:                              ;   in Loop: Header=BB29_35 Depth=1
	v_lshlrev_b32_e32 v10, 2, v6
	v_add_u32_e32 v10, 0, v10
	v_lshlrev_b32_e32 v11, 2, v9
	v_add3_u32 v10, v10, v11, -4
	ds_write_b32 v10, v8
	s_or_b64 exec, exec, s[10:11]
	s_and_saveexec_b64 s[10:11], s[2:3]
	s_cbranch_execz .LBB29_34
.LBB29_40:                              ;   in Loop: Header=BB29_35 Depth=1
	ds_write_b32 v3, v9 offset:1028
	s_branch .LBB29_34
.LBB29_41:
	s_or_b64 exec, exec, s[6:7]
	s_ashr_i32 s5, s4, 31
	s_lshl_b64 s[0:1], s[4:5], 3
	s_add_u32 s4, s24, s0
	s_addc_u32 s5, s25, s1
	s_load_dwordx4 s[0:3], s[4:5], 0x0
	s_waitcnt lgkmcnt(0)
	s_sub_i32 s8, s2, s0
	v_cmp_gt_i32_e32 vcc, s8, v0
	s_and_saveexec_b64 s[4:5], vcc
	s_cbranch_execz .LBB29_51
; %bb.42:
	s_sub_u32 s4, s0, s30
	s_subb_u32 s5, s1, 0
	s_and_b32 s9, s8, 7
	s_sub_i32 s0, s0, s2
	s_cmp_lt_u32 s0, -7
	s_cselect_b64 s[0:1], -1, 0
	s_and_b32 s10, s8, -8
	s_cmp_lg_u32 s9, 0
	v_cndmask_b32_e64 v1, 0, 1, s[0:1]
	s_mov_b64 s[2:3], 0
	s_cselect_b64 s[6:7], -1, 0
	v_cmp_ne_u32_e64 s[0:1], 1, v1
	s_branch .LBB29_44
.LBB29_43:                              ;   in Loop: Header=BB29_44 Depth=1
	v_lshlrev_b64 v[1:2], 2, v[1:2]
	v_mov_b32_e32 v4, s27
	v_add_co_u32_e32 v1, vcc, s26, v1
	v_addc_co_u32_e32 v2, vcc, v4, v2, vcc
	v_add_u32_e32 v0, 0x80, v0
	v_cmp_le_i32_e32 vcc, s8, v0
	s_waitcnt lgkmcnt(0)
	v_add_u32_e32 v3, s30, v3
	s_or_b64 s[2:3], vcc, s[2:3]
	global_store_dword v[1:2], v3, off
	s_andn2_b64 exec, exec, s[2:3]
	s_cbranch_execz .LBB29_51
.LBB29_44:                              ; =>This Loop Header: Depth=1
                                        ;     Child Loop BB29_46 Depth 2
                                        ;     Child Loop BB29_50 Depth 2
	v_lshl_add_u32 v1, v0, 2, 0
	ds_read_b32 v3, v1
	v_mov_b32_e32 v1, s4
	s_and_b64 vcc, exec, s[0:1]
	v_mov_b32_e32 v2, s5
	s_mov_b32 s11, 0
	s_cbranch_vccnz .LBB29_48
; %bb.45:                               ;   in Loop: Header=BB29_44 Depth=1
	v_mov_b32_e32 v1, s4
	s_mov_b32 s12, 0
	v_mov_b32_e32 v2, s5
.LBB29_46:                              ;   Parent Loop BB29_44 Depth=1
                                        ; =>  This Inner Loop Header: Depth=2
	v_mov_b32_e32 v10, s12
	ds_read2_b32 v[4:5], v10 offset1:1
	ds_read2_b32 v[6:7], v10 offset0:2 offset1:3
	ds_read2_b32 v[8:9], v10 offset0:4 offset1:5
	;; [unrolled: 1-line block ×3, first 2 shown]
	s_add_i32 s11, s11, 8
	s_waitcnt lgkmcnt(3)
	v_cmp_gt_i32_e32 vcc, v3, v4
	v_cndmask_b32_e64 v4, 0, 1, vcc
	v_cmp_gt_i32_e32 vcc, v3, v5
	v_cndmask_b32_e64 v5, 0, 1, vcc
	s_waitcnt lgkmcnt(2)
	v_cmp_gt_i32_e32 vcc, v3, v6
	v_cndmask_b32_e64 v6, 0, 1, vcc
	v_cmp_gt_i32_e32 vcc, v3, v7
	v_cndmask_b32_e64 v7, 0, 1, vcc
	s_waitcnt lgkmcnt(1)
	v_cmp_gt_i32_e32 vcc, v3, v8
	v_cndmask_b32_e64 v8, 0, 1, vcc
	v_cmp_gt_i32_e32 vcc, v3, v9
	v_cndmask_b32_e64 v9, 0, 1, vcc
	s_waitcnt lgkmcnt(0)
	v_cmp_gt_i32_e32 vcc, v3, v10
	v_cndmask_b32_e64 v10, 0, 1, vcc
	v_cmp_gt_i32_e32 vcc, v3, v11
	v_cndmask_b32_e64 v11, 0, 1, vcc
	v_add_co_u32_e32 v1, vcc, v1, v4
	v_addc_co_u32_e32 v2, vcc, 0, v2, vcc
	v_add_co_u32_e32 v1, vcc, v1, v5
	v_addc_co_u32_e32 v2, vcc, 0, v2, vcc
	v_add_co_u32_e32 v1, vcc, v1, v6
	v_addc_co_u32_e32 v2, vcc, 0, v2, vcc
	v_add_co_u32_e32 v1, vcc, v1, v7
	v_addc_co_u32_e32 v2, vcc, 0, v2, vcc
	v_add_co_u32_e32 v1, vcc, v1, v8
	v_addc_co_u32_e32 v2, vcc, 0, v2, vcc
	v_add_co_u32_e32 v1, vcc, v1, v9
	v_addc_co_u32_e32 v2, vcc, 0, v2, vcc
	v_add_co_u32_e32 v1, vcc, v1, v10
	v_addc_co_u32_e32 v2, vcc, 0, v2, vcc
	s_add_i32 s12, s12, 32
	v_add_co_u32_e32 v1, vcc, v1, v11
	s_cmp_eq_u32 s10, s11
	v_addc_co_u32_e32 v2, vcc, 0, v2, vcc
	s_cbranch_scc0 .LBB29_46
; %bb.47:                               ;   in Loop: Header=BB29_44 Depth=1
	s_mov_b32 s11, s10
.LBB29_48:                              ;   in Loop: Header=BB29_44 Depth=1
	s_andn2_b64 vcc, exec, s[6:7]
	s_cbranch_vccnz .LBB29_43
; %bb.49:                               ;   in Loop: Header=BB29_44 Depth=1
	s_lshl_b32 s11, s11, 2
	s_add_i32 s11, s11, 0
	s_mov_b32 s12, s9
.LBB29_50:                              ;   Parent Loop BB29_44 Depth=1
                                        ; =>  This Inner Loop Header: Depth=2
	v_mov_b32_e32 v4, s11
	ds_read_b32 v4, v4
	s_add_i32 s11, s11, 4
	s_add_i32 s12, s12, -1
	s_cmp_lg_u32 s12, 0
	s_waitcnt lgkmcnt(0)
	v_cmp_gt_i32_e32 vcc, v3, v4
	v_cndmask_b32_e64 v4, 0, 1, vcc
	v_add_co_u32_e32 v1, vcc, v1, v4
	v_addc_co_u32_e32 v2, vcc, 0, v2, vcc
	s_cbranch_scc1 .LBB29_50
	s_branch .LBB29_43
.LBB29_51:
	s_endpgm
	.section	.rodata,"a",@progbits
	.p2align	6, 0x0
	.amdhsa_kernel _ZN9rocsparseL35csrgemm_symbolic_fill_block_per_rowILj128ELj16ELj256ELj137ELj64EliEEvT5_PKS1_S3_PKT4_S3_S6_S3_S6_S3_S6_PS1_21rocsparse_index_base_S8_S8_S8_bb
		.amdhsa_group_segment_fixed_size 0
		.amdhsa_private_segment_fixed_size 0
		.amdhsa_kernarg_size 108
		.amdhsa_user_sgpr_count 6
		.amdhsa_user_sgpr_private_segment_buffer 1
		.amdhsa_user_sgpr_dispatch_ptr 0
		.amdhsa_user_sgpr_queue_ptr 0
		.amdhsa_user_sgpr_kernarg_segment_ptr 1
		.amdhsa_user_sgpr_dispatch_id 0
		.amdhsa_user_sgpr_flat_scratch_init 0
		.amdhsa_user_sgpr_private_segment_size 0
		.amdhsa_uses_dynamic_stack 0
		.amdhsa_system_sgpr_private_segment_wavefront_offset 0
		.amdhsa_system_sgpr_workgroup_id_x 1
		.amdhsa_system_sgpr_workgroup_id_y 0
		.amdhsa_system_sgpr_workgroup_id_z 0
		.amdhsa_system_sgpr_workgroup_info 0
		.amdhsa_system_vgpr_workitem_id 0
		.amdhsa_next_free_vgpr 17
		.amdhsa_next_free_sgpr 45
		.amdhsa_reserve_vcc 1
		.amdhsa_reserve_flat_scratch 0
		.amdhsa_float_round_mode_32 0
		.amdhsa_float_round_mode_16_64 0
		.amdhsa_float_denorm_mode_32 3
		.amdhsa_float_denorm_mode_16_64 3
		.amdhsa_dx10_clamp 1
		.amdhsa_ieee_mode 1
		.amdhsa_fp16_overflow 0
		.amdhsa_exception_fp_ieee_invalid_op 0
		.amdhsa_exception_fp_denorm_src 0
		.amdhsa_exception_fp_ieee_div_zero 0
		.amdhsa_exception_fp_ieee_overflow 0
		.amdhsa_exception_fp_ieee_underflow 0
		.amdhsa_exception_fp_ieee_inexact 0
		.amdhsa_exception_int_div_zero 0
	.end_amdhsa_kernel
	.section	.text._ZN9rocsparseL35csrgemm_symbolic_fill_block_per_rowILj128ELj16ELj256ELj137ELj64EliEEvT5_PKS1_S3_PKT4_S3_S6_S3_S6_S3_S6_PS1_21rocsparse_index_base_S8_S8_S8_bb,"axG",@progbits,_ZN9rocsparseL35csrgemm_symbolic_fill_block_per_rowILj128ELj16ELj256ELj137ELj64EliEEvT5_PKS1_S3_PKT4_S3_S6_S3_S6_S3_S6_PS1_21rocsparse_index_base_S8_S8_S8_bb,comdat
.Lfunc_end29:
	.size	_ZN9rocsparseL35csrgemm_symbolic_fill_block_per_rowILj128ELj16ELj256ELj137ELj64EliEEvT5_PKS1_S3_PKT4_S3_S6_S3_S6_S3_S6_PS1_21rocsparse_index_base_S8_S8_S8_bb, .Lfunc_end29-_ZN9rocsparseL35csrgemm_symbolic_fill_block_per_rowILj128ELj16ELj256ELj137ELj64EliEEvT5_PKS1_S3_PKT4_S3_S6_S3_S6_S3_S6_PS1_21rocsparse_index_base_S8_S8_S8_bb
                                        ; -- End function
	.set _ZN9rocsparseL35csrgemm_symbolic_fill_block_per_rowILj128ELj16ELj256ELj137ELj64EliEEvT5_PKS1_S3_PKT4_S3_S6_S3_S6_S3_S6_PS1_21rocsparse_index_base_S8_S8_S8_bb.num_vgpr, 17
	.set _ZN9rocsparseL35csrgemm_symbolic_fill_block_per_rowILj128ELj16ELj256ELj137ELj64EliEEvT5_PKS1_S3_PKT4_S3_S6_S3_S6_S3_S6_PS1_21rocsparse_index_base_S8_S8_S8_bb.num_agpr, 0
	.set _ZN9rocsparseL35csrgemm_symbolic_fill_block_per_rowILj128ELj16ELj256ELj137ELj64EliEEvT5_PKS1_S3_PKT4_S3_S6_S3_S6_S3_S6_PS1_21rocsparse_index_base_S8_S8_S8_bb.numbered_sgpr, 45
	.set _ZN9rocsparseL35csrgemm_symbolic_fill_block_per_rowILj128ELj16ELj256ELj137ELj64EliEEvT5_PKS1_S3_PKT4_S3_S6_S3_S6_S3_S6_PS1_21rocsparse_index_base_S8_S8_S8_bb.num_named_barrier, 0
	.set _ZN9rocsparseL35csrgemm_symbolic_fill_block_per_rowILj128ELj16ELj256ELj137ELj64EliEEvT5_PKS1_S3_PKT4_S3_S6_S3_S6_S3_S6_PS1_21rocsparse_index_base_S8_S8_S8_bb.private_seg_size, 0
	.set _ZN9rocsparseL35csrgemm_symbolic_fill_block_per_rowILj128ELj16ELj256ELj137ELj64EliEEvT5_PKS1_S3_PKT4_S3_S6_S3_S6_S3_S6_PS1_21rocsparse_index_base_S8_S8_S8_bb.uses_vcc, 1
	.set _ZN9rocsparseL35csrgemm_symbolic_fill_block_per_rowILj128ELj16ELj256ELj137ELj64EliEEvT5_PKS1_S3_PKT4_S3_S6_S3_S6_S3_S6_PS1_21rocsparse_index_base_S8_S8_S8_bb.uses_flat_scratch, 0
	.set _ZN9rocsparseL35csrgemm_symbolic_fill_block_per_rowILj128ELj16ELj256ELj137ELj64EliEEvT5_PKS1_S3_PKT4_S3_S6_S3_S6_S3_S6_PS1_21rocsparse_index_base_S8_S8_S8_bb.has_dyn_sized_stack, 0
	.set _ZN9rocsparseL35csrgemm_symbolic_fill_block_per_rowILj128ELj16ELj256ELj137ELj64EliEEvT5_PKS1_S3_PKT4_S3_S6_S3_S6_S3_S6_PS1_21rocsparse_index_base_S8_S8_S8_bb.has_recursion, 0
	.set _ZN9rocsparseL35csrgemm_symbolic_fill_block_per_rowILj128ELj16ELj256ELj137ELj64EliEEvT5_PKS1_S3_PKT4_S3_S6_S3_S6_S3_S6_PS1_21rocsparse_index_base_S8_S8_S8_bb.has_indirect_call, 0
	.section	.AMDGPU.csdata,"",@progbits
; Kernel info:
; codeLenInByte = 1916
; TotalNumSgprs: 49
; NumVgprs: 17
; ScratchSize: 0
; MemoryBound: 0
; FloatMode: 240
; IeeeMode: 1
; LDSByteSize: 0 bytes/workgroup (compile time only)
; SGPRBlocks: 6
; VGPRBlocks: 4
; NumSGPRsForWavesPerEU: 49
; NumVGPRsForWavesPerEU: 17
; Occupancy: 10
; WaveLimiterHint : 1
; COMPUTE_PGM_RSRC2:SCRATCH_EN: 0
; COMPUTE_PGM_RSRC2:USER_SGPR: 6
; COMPUTE_PGM_RSRC2:TRAP_HANDLER: 0
; COMPUTE_PGM_RSRC2:TGID_X_EN: 1
; COMPUTE_PGM_RSRC2:TGID_Y_EN: 0
; COMPUTE_PGM_RSRC2:TGID_Z_EN: 0
; COMPUTE_PGM_RSRC2:TIDIG_COMP_CNT: 0
	.section	.text._ZN9rocsparseL35csrgemm_symbolic_fill_block_per_rowILj256ELj32ELj512ELj137ELj32EliEEvT5_PKS1_S3_PKT4_S3_S6_S3_S6_S3_S6_PS1_21rocsparse_index_base_S8_S8_S8_bb,"axG",@progbits,_ZN9rocsparseL35csrgemm_symbolic_fill_block_per_rowILj256ELj32ELj512ELj137ELj32EliEEvT5_PKS1_S3_PKT4_S3_S6_S3_S6_S3_S6_PS1_21rocsparse_index_base_S8_S8_S8_bb,comdat
	.globl	_ZN9rocsparseL35csrgemm_symbolic_fill_block_per_rowILj256ELj32ELj512ELj137ELj32EliEEvT5_PKS1_S3_PKT4_S3_S6_S3_S6_S3_S6_PS1_21rocsparse_index_base_S8_S8_S8_bb ; -- Begin function _ZN9rocsparseL35csrgemm_symbolic_fill_block_per_rowILj256ELj32ELj512ELj137ELj32EliEEvT5_PKS1_S3_PKT4_S3_S6_S3_S6_S3_S6_PS1_21rocsparse_index_base_S8_S8_S8_bb
	.p2align	8
	.type	_ZN9rocsparseL35csrgemm_symbolic_fill_block_per_rowILj256ELj32ELj512ELj137ELj32EliEEvT5_PKS1_S3_PKT4_S3_S6_S3_S6_S3_S6_PS1_21rocsparse_index_base_S8_S8_S8_bb,@function
_ZN9rocsparseL35csrgemm_symbolic_fill_block_per_rowILj256ELj32ELj512ELj137ELj32EliEEvT5_PKS1_S3_PKT4_S3_S6_S3_S6_S3_S6_PS1_21rocsparse_index_base_S8_S8_S8_bb: ; @_ZN9rocsparseL35csrgemm_symbolic_fill_block_per_rowILj256ELj32ELj512ELj137ELj32EliEEvT5_PKS1_S3_PKT4_S3_S6_S3_S6_S3_S6_PS1_21rocsparse_index_base_S8_S8_S8_bb
; %bb.0:
	s_load_dwordx4 s[24:27], s[4:5], 0x48
	s_load_dwordx8 s[8:15], s[4:5], 0x28
	s_load_dword s33, s[4:5], 0x0
	s_load_dwordx8 s[16:23], s[4:5], 0x8
	s_movk_i32 s0, 0x200
	v_cmp_gt_u32_e64 s[0:1], s0, v0
	v_lshl_add_u32 v7, v0, 2, 0
	s_and_saveexec_b64 s[2:3], s[0:1]
	s_cbranch_execz .LBB30_3
; %bb.1:
	v_or_b32_e32 v1, 0xffffff00, v0
	v_lshl_add_u32 v2, v0, 2, 0
	s_mov_b64 s[28:29], 0
	s_waitcnt lgkmcnt(0)
	v_mov_b32_e32 v3, s33
.LBB30_2:                               ; =>This Inner Loop Header: Depth=1
	v_add_co_u32_e32 v1, vcc, 0x100, v1
	s_xor_b64 s[30:31], vcc, -1
	s_and_b64 s[30:31], exec, s[30:31]
	ds_write_b32 v2, v3
	s_or_b64 s[28:29], s[30:31], s[28:29]
	v_add_u32_e32 v2, 0x400, v2
	s_andn2_b64 exec, exec, s[28:29]
	s_cbranch_execnz .LBB30_2
.LBB30_3:
	s_or_b64 exec, exec, s[2:3]
	s_load_dword s44, s[4:5], 0x68
	s_waitcnt lgkmcnt(0)
	s_barrier
	s_load_dword s7, s[16:17], 0x0
	s_load_dwordx4 s[28:31], s[4:5], 0x58
	s_bitcmp1_b32 s44, 0
	s_cselect_b64 s[2:3], -1, 0
	s_mov_b32 s5, 0
	s_waitcnt lgkmcnt(0)
	s_add_i32 s4, s7, s6
	s_lshl_b64 s[4:5], s[4:5], 2
	s_add_u32 s4, s18, s4
	s_addc_u32 s5, s19, s5
	s_load_dword s16, s[4:5], 0x0
	v_lshrrev_b32_e32 v8, 5, v0
	s_and_b64 vcc, exec, s[2:3]
	s_cbranch_vccz .LBB30_19
; %bb.4:
	s_waitcnt lgkmcnt(0)
	s_ashr_i32 s17, s16, 31
	s_lshl_b64 s[2:3], s[16:17], 3
	s_add_u32 s2, s20, s2
	s_addc_u32 s3, s21, s3
	s_load_dwordx4 s[4:7], s[2:3], 0x0
	v_subrev_co_u32_e32 v1, vcc, s28, v8
	v_subb_co_u32_e64 v2, s[2:3], 0, 0, vcc
	s_waitcnt lgkmcnt(0)
	s_sub_u32 s2, s6, s28
	v_mov_b32_e32 v3, s5
	v_add_co_u32_e32 v1, vcc, s4, v1
	s_subb_u32 s3, s7, 0
	v_addc_co_u32_e32 v2, vcc, v3, v2, vcc
	v_cmp_gt_i64_e32 vcc, s[2:3], v[1:2]
	s_and_saveexec_b64 s[4:5], vcc
	s_cbranch_execz .LBB30_18
; %bb.5:
	v_and_b32_e32 v3, 31, v0
	v_subrev_co_u32_e32 v9, vcc, s29, v3
	v_subb_co_u32_e64 v10, s[6:7], 0, 0, vcc
	s_mov_b32 s17, s29
	s_mov_b64 s[6:7], 0
	v_mov_b32_e32 v11, s23
	v_mov_b32_e32 v12, s9
	s_movk_i32 s9, 0x89
	s_branch .LBB30_7
.LBB30_6:                               ;   in Loop: Header=BB30_7 Depth=1
	s_or_b64 exec, exec, s[18:19]
	v_add_co_u32_e32 v1, vcc, 8, v1
	v_addc_co_u32_e32 v2, vcc, 0, v2, vcc
	v_cmp_le_i64_e32 vcc, s[2:3], v[1:2]
	s_or_b64 s[6:7], vcc, s[6:7]
	s_andn2_b64 exec, exec, s[6:7]
	s_cbranch_execz .LBB30_18
.LBB30_7:                               ; =>This Loop Header: Depth=1
                                        ;     Child Loop BB30_10 Depth 2
                                        ;       Child Loop BB30_13 Depth 3
	v_lshlrev_b64 v[3:4], 2, v[1:2]
	v_add_co_u32_e32 v3, vcc, s22, v3
	v_addc_co_u32_e32 v4, vcc, v11, v4, vcc
	global_load_dword v3, v[3:4], off
	s_waitcnt vmcnt(0)
	v_subrev_u32_e32 v3, s28, v3
	v_ashrrev_i32_e32 v4, 31, v3
	v_lshlrev_b64 v[3:4], 3, v[3:4]
	v_add_co_u32_e32 v3, vcc, s8, v3
	v_addc_co_u32_e32 v4, vcc, v12, v4, vcc
	global_load_dwordx4 v[13:16], v[3:4], off
	s_waitcnt vmcnt(0)
	v_subrev_co_u32_e32 v3, vcc, s17, v15
	v_subbrev_co_u32_e32 v4, vcc, 0, v16, vcc
	v_add_co_u32_e32 v5, vcc, v13, v9
	v_addc_co_u32_e32 v6, vcc, v14, v10, vcc
	v_cmp_lt_i64_e32 vcc, v[5:6], v[3:4]
	s_and_saveexec_b64 s[18:19], vcc
	s_cbranch_execz .LBB30_6
; %bb.8:                                ;   in Loop: Header=BB30_7 Depth=1
	s_mov_b64 s[20:21], 0
	s_branch .LBB30_10
.LBB30_9:                               ;   in Loop: Header=BB30_10 Depth=2
	s_or_b64 exec, exec, s[34:35]
	v_add_co_u32_e32 v5, vcc, 32, v5
	v_addc_co_u32_e32 v6, vcc, 0, v6, vcc
	v_cmp_ge_i64_e32 vcc, v[5:6], v[3:4]
	s_or_b64 s[20:21], vcc, s[20:21]
	s_andn2_b64 exec, exec, s[20:21]
	s_cbranch_execz .LBB30_6
.LBB30_10:                              ;   Parent Loop BB30_7 Depth=1
                                        ; =>  This Loop Header: Depth=2
                                        ;       Child Loop BB30_13 Depth 3
	v_lshlrev_b64 v[13:14], 2, v[5:6]
	v_mov_b32_e32 v15, s11
	v_add_co_u32_e32 v13, vcc, s10, v13
	v_addc_co_u32_e32 v14, vcc, v15, v14, vcc
	global_load_dword v13, v[13:14], off
	s_mov_b64 s[34:35], 0
                                        ; implicit-def: $sgpr36_sgpr37
	s_waitcnt vmcnt(0)
	v_subrev_u32_e32 v13, s29, v13
	v_mul_lo_u32 v14, v13, s9
	v_and_b32_e32 v14, 0x1ff, v14
	s_branch .LBB30_13
.LBB30_11:                              ;   in Loop: Header=BB30_13 Depth=3
	s_or_b64 exec, exec, s[40:41]
	s_andn2_b64 s[36:37], s[36:37], exec
	s_and_b64 s[40:41], s[42:43], exec
	s_or_b64 s[36:37], s[36:37], s[40:41]
.LBB30_12:                              ;   in Loop: Header=BB30_13 Depth=3
	s_or_b64 exec, exec, s[38:39]
	s_xor_b64 s[38:39], s[36:37], -1
	s_and_b64 s[38:39], exec, s[38:39]
	s_or_b64 s[34:35], s[38:39], s[34:35]
	s_andn2_b64 exec, exec, s[34:35]
	s_cbranch_execz .LBB30_9
.LBB30_13:                              ;   Parent Loop BB30_7 Depth=1
                                        ;     Parent Loop BB30_10 Depth=2
                                        ; =>    This Inner Loop Header: Depth=3
	v_lshl_add_u32 v15, v14, 2, 0
	ds_read_b32 v16, v15
	s_andn2_b64 s[36:37], s[36:37], exec
	s_waitcnt lgkmcnt(0)
	v_cmp_ne_u32_e32 vcc, v16, v13
	s_and_saveexec_b64 s[38:39], vcc
	s_cbranch_execz .LBB30_12
; %bb.14:                               ;   in Loop: Header=BB30_13 Depth=3
	v_cmp_ne_u32_e32 vcc, s33, v16
	s_and_saveexec_b64 s[40:41], vcc
	s_xor_b64 s[40:41], exec, s[40:41]
; %bb.15:                               ;   in Loop: Header=BB30_13 Depth=3
	v_add_u32_e32 v14, 1, v14
	v_and_b32_e32 v14, 0x1ff, v14
                                        ; implicit-def: $vgpr15
; %bb.16:                               ;   in Loop: Header=BB30_13 Depth=3
	s_or_saveexec_b64 s[40:41], s[40:41]
	s_mov_b64 s[42:43], -1
	s_xor_b64 exec, exec, s[40:41]
	s_cbranch_execz .LBB30_11
; %bb.17:                               ;   in Loop: Header=BB30_13 Depth=3
	v_mov_b32_e32 v16, s33
	ds_cmpst_rtn_b32 v15, v15, v16, v13
	s_waitcnt lgkmcnt(0)
	v_cmp_ne_u32_e32 vcc, s33, v15
	s_orn2_b64 s[42:43], vcc, exec
	s_branch .LBB30_11
.LBB30_18:
	s_or_b64 exec, exec, s[4:5]
.LBB30_19:
	s_bfe_u32 s2, s44, 0x10008
	s_cmp_eq_u32 s2, 0
	s_cbranch_scc1 .LBB30_32
; %bb.20:
	s_waitcnt lgkmcnt(0)
	s_ashr_i32 s17, s16, 31
	s_lshl_b64 s[2:3], s[16:17], 3
	s_add_u32 s2, s12, s2
	s_addc_u32 s3, s13, s3
	s_load_dwordx4 s[4:7], s[2:3], 0x0
	v_subrev_co_u32_e32 v1, vcc, s31, v0
	v_subb_co_u32_e64 v2, s[2:3], 0, 0, vcc
	s_waitcnt lgkmcnt(0)
	s_sub_u32 s2, s6, s31
	v_mov_b32_e32 v3, s5
	v_add_co_u32_e32 v1, vcc, s4, v1
	s_subb_u32 s3, s7, 0
	v_addc_co_u32_e32 v2, vcc, v3, v2, vcc
	v_cmp_gt_i64_e32 vcc, s[2:3], v[1:2]
	s_and_saveexec_b64 s[4:5], vcc
	s_cbranch_execz .LBB30_31
; %bb.21:
	s_mov_b64 s[6:7], 0
	v_mov_b32_e32 v3, s15
	s_movk_i32 s15, 0x89
	s_branch .LBB30_23
.LBB30_22:                              ;   in Loop: Header=BB30_23 Depth=1
	s_or_b64 exec, exec, s[8:9]
	v_add_co_u32_e32 v1, vcc, 0x100, v1
	v_addc_co_u32_e32 v2, vcc, 0, v2, vcc
	v_cmp_le_i64_e32 vcc, s[2:3], v[1:2]
	s_or_b64 s[6:7], vcc, s[6:7]
	s_andn2_b64 exec, exec, s[6:7]
	s_cbranch_execz .LBB30_31
.LBB30_23:                              ; =>This Loop Header: Depth=1
                                        ;     Child Loop BB30_26 Depth 2
	v_lshlrev_b64 v[4:5], 2, v[1:2]
	s_mov_b64 s[8:9], 0
	v_add_co_u32_e32 v4, vcc, s14, v4
	v_addc_co_u32_e32 v5, vcc, v3, v5, vcc
	global_load_dword v4, v[4:5], off
                                        ; implicit-def: $sgpr10_sgpr11
	s_waitcnt vmcnt(0)
	v_subrev_u32_e32 v4, s31, v4
	v_mul_lo_u32 v5, v4, s15
	v_and_b32_e32 v5, 0x1ff, v5
	s_branch .LBB30_26
.LBB30_24:                              ;   in Loop: Header=BB30_26 Depth=2
	s_or_b64 exec, exec, s[18:19]
	s_andn2_b64 s[10:11], s[10:11], exec
	s_and_b64 s[18:19], s[20:21], exec
	s_or_b64 s[10:11], s[10:11], s[18:19]
.LBB30_25:                              ;   in Loop: Header=BB30_26 Depth=2
	s_or_b64 exec, exec, s[12:13]
	s_xor_b64 s[12:13], s[10:11], -1
	s_and_b64 s[12:13], exec, s[12:13]
	s_or_b64 s[8:9], s[12:13], s[8:9]
	s_andn2_b64 exec, exec, s[8:9]
	s_cbranch_execz .LBB30_22
.LBB30_26:                              ;   Parent Loop BB30_23 Depth=1
                                        ; =>  This Inner Loop Header: Depth=2
	v_lshl_add_u32 v6, v5, 2, 0
	ds_read_b32 v9, v6
	s_andn2_b64 s[10:11], s[10:11], exec
	s_waitcnt lgkmcnt(0)
	v_cmp_ne_u32_e32 vcc, v9, v4
	s_and_saveexec_b64 s[12:13], vcc
	s_cbranch_execz .LBB30_25
; %bb.27:                               ;   in Loop: Header=BB30_26 Depth=2
	v_cmp_ne_u32_e32 vcc, s33, v9
	s_and_saveexec_b64 s[18:19], vcc
	s_xor_b64 s[18:19], exec, s[18:19]
; %bb.28:                               ;   in Loop: Header=BB30_26 Depth=2
	v_add_u32_e32 v5, 1, v5
	v_and_b32_e32 v5, 0x1ff, v5
                                        ; implicit-def: $vgpr6
; %bb.29:                               ;   in Loop: Header=BB30_26 Depth=2
	s_or_saveexec_b64 s[18:19], s[18:19]
	s_mov_b64 s[20:21], -1
	s_xor_b64 exec, exec, s[18:19]
	s_cbranch_execz .LBB30_24
; %bb.30:                               ;   in Loop: Header=BB30_26 Depth=2
	v_mov_b32_e32 v9, s33
	ds_cmpst_rtn_b32 v6, v6, v9, v4
	s_waitcnt lgkmcnt(0)
	v_cmp_ne_u32_e32 vcc, s33, v6
	s_orn2_b64 s[20:21], vcc, exec
	s_branch .LBB30_24
.LBB30_31:
	s_or_b64 exec, exec, s[4:5]
.LBB30_32:
	s_waitcnt lgkmcnt(0)
	s_barrier
	s_and_saveexec_b64 s[18:19], s[0:1]
	s_cbranch_execz .LBB30_53
; %bb.33:
	v_mbcnt_lo_u32_b32 v1, -1, 0
	v_mbcnt_hi_u32_b32 v1, -1, v1
	v_sub_u32_e32 v1, 63, v1
	v_lshrrev_b64 v[1:2], v1, -1
	s_movk_i32 s0, 0xff
	s_movk_i32 s6, 0x5f
	;; [unrolled: 1-line block ×6, first 2 shown]
	v_mov_b32_e32 v3, 0
	v_lshl_add_u32 v4, v8, 2, 0
	v_cmp_eq_u32_e64 s[0:1], s0, v0
	v_cmp_lt_u32_e64 s[2:3], 31, v0
	v_cmp_lt_u32_e64 s[4:5], 63, v0
	;; [unrolled: 1-line block ×7, first 2 shown]
	v_or_b32_e32 v5, 0xffffff00, v0
	s_mov_b64 s[20:21], 0
	v_mov_b32_e32 v6, 0
	s_branch .LBB30_35
.LBB30_34:                              ;   in Loop: Header=BB30_35 Depth=1
	s_or_b64 exec, exec, s[22:23]
	s_waitcnt lgkmcnt(0)
	s_barrier
	ds_read_b32 v8, v3 offset:2076
	v_add_co_u32_e32 v5, vcc, 0x100, v5
	s_xor_b64 s[22:23], vcc, -1
	s_and_b64 s[22:23], exec, s[22:23]
	s_waitcnt lgkmcnt(0)
	v_add_u32_e32 v6, v8, v6
	s_or_b64 s[20:21], s[22:23], s[20:21]
	v_add_u32_e32 v7, 0x400, v7
	s_andn2_b64 exec, exec, s[20:21]
	s_cbranch_execz .LBB30_53
.LBB30_35:                              ; =>This Inner Loop Header: Depth=1
	ds_read_b32 v8, v7
	s_waitcnt lgkmcnt(0)
	s_barrier
	v_cmp_gt_i32_e32 vcc, s33, v8
	v_and_b32_e32 v10, vcc_lo, v1
	s_bcnt1_i32_b64 s17, vcc
	v_and_b32_e32 v9, vcc_hi, v2
	v_bcnt_u32_b32 v10, v10, 0
	v_bcnt_u32_b32 v9, v9, v10
	v_mov_b32_e32 v10, s17
	ds_write_b32 v4, v10 offset:2048
	s_waitcnt lgkmcnt(0)
	s_barrier
	s_and_saveexec_b64 s[22:23], s[2:3]
	s_cbranch_execnz .LBB30_44
; %bb.36:                               ;   in Loop: Header=BB30_35 Depth=1
	s_or_b64 exec, exec, s[22:23]
	s_and_saveexec_b64 s[22:23], s[4:5]
	s_cbranch_execnz .LBB30_45
.LBB30_37:                              ;   in Loop: Header=BB30_35 Depth=1
	s_or_b64 exec, exec, s[22:23]
	s_and_saveexec_b64 s[22:23], s[6:7]
	s_cbranch_execnz .LBB30_46
.LBB30_38:                              ;   in Loop: Header=BB30_35 Depth=1
	s_or_b64 exec, exec, s[22:23]
	s_and_saveexec_b64 s[22:23], s[8:9]
	s_cbranch_execnz .LBB30_47
.LBB30_39:                              ;   in Loop: Header=BB30_35 Depth=1
	s_or_b64 exec, exec, s[22:23]
	s_and_saveexec_b64 s[22:23], s[10:11]
	s_cbranch_execnz .LBB30_48
.LBB30_40:                              ;   in Loop: Header=BB30_35 Depth=1
	s_or_b64 exec, exec, s[22:23]
	s_and_saveexec_b64 s[22:23], s[12:13]
	s_cbranch_execnz .LBB30_49
.LBB30_41:                              ;   in Loop: Header=BB30_35 Depth=1
	s_or_b64 exec, exec, s[22:23]
	s_and_saveexec_b64 s[22:23], s[14:15]
	s_cbranch_execnz .LBB30_50
.LBB30_42:                              ;   in Loop: Header=BB30_35 Depth=1
	s_or_b64 exec, exec, s[22:23]
	s_and_saveexec_b64 s[22:23], vcc
	s_cbranch_execnz .LBB30_51
.LBB30_43:                              ;   in Loop: Header=BB30_35 Depth=1
	s_or_b64 exec, exec, s[22:23]
	s_and_saveexec_b64 s[22:23], s[0:1]
	s_cbranch_execz .LBB30_34
	s_branch .LBB30_52
.LBB30_44:                              ;   in Loop: Header=BB30_35 Depth=1
	ds_read_b32 v10, v3 offset:2048
	s_waitcnt lgkmcnt(0)
	v_add_u32_e32 v9, v10, v9
	s_or_b64 exec, exec, s[22:23]
	s_and_saveexec_b64 s[22:23], s[4:5]
	s_cbranch_execz .LBB30_37
.LBB30_45:                              ;   in Loop: Header=BB30_35 Depth=1
	ds_read_b32 v10, v3 offset:2052
	s_waitcnt lgkmcnt(0)
	v_add_u32_e32 v9, v10, v9
	s_or_b64 exec, exec, s[22:23]
	s_and_saveexec_b64 s[22:23], s[6:7]
	s_cbranch_execz .LBB30_38
.LBB30_46:                              ;   in Loop: Header=BB30_35 Depth=1
	ds_read_b32 v10, v3 offset:2056
	s_waitcnt lgkmcnt(0)
	v_add_u32_e32 v9, v10, v9
	s_or_b64 exec, exec, s[22:23]
	s_and_saveexec_b64 s[22:23], s[8:9]
	s_cbranch_execz .LBB30_39
.LBB30_47:                              ;   in Loop: Header=BB30_35 Depth=1
	ds_read_b32 v10, v3 offset:2060
	s_waitcnt lgkmcnt(0)
	v_add_u32_e32 v9, v10, v9
	s_or_b64 exec, exec, s[22:23]
	s_and_saveexec_b64 s[22:23], s[10:11]
	s_cbranch_execz .LBB30_40
.LBB30_48:                              ;   in Loop: Header=BB30_35 Depth=1
	ds_read_b32 v10, v3 offset:2064
	s_waitcnt lgkmcnt(0)
	v_add_u32_e32 v9, v10, v9
	s_or_b64 exec, exec, s[22:23]
	s_and_saveexec_b64 s[22:23], s[12:13]
	s_cbranch_execz .LBB30_41
.LBB30_49:                              ;   in Loop: Header=BB30_35 Depth=1
	ds_read_b32 v10, v3 offset:2068
	s_waitcnt lgkmcnt(0)
	v_add_u32_e32 v9, v10, v9
	s_or_b64 exec, exec, s[22:23]
	s_and_saveexec_b64 s[22:23], s[14:15]
	s_cbranch_execz .LBB30_42
.LBB30_50:                              ;   in Loop: Header=BB30_35 Depth=1
	ds_read_b32 v10, v3 offset:2072
	s_waitcnt lgkmcnt(0)
	v_add_u32_e32 v9, v10, v9
	s_or_b64 exec, exec, s[22:23]
	s_and_saveexec_b64 s[22:23], vcc
	s_cbranch_execz .LBB30_43
.LBB30_51:                              ;   in Loop: Header=BB30_35 Depth=1
	v_lshlrev_b32_e32 v10, 2, v6
	v_add_u32_e32 v10, 0, v10
	v_lshlrev_b32_e32 v11, 2, v9
	v_add3_u32 v10, v10, v11, -4
	ds_write_b32 v10, v8
	s_or_b64 exec, exec, s[22:23]
	s_and_saveexec_b64 s[22:23], s[0:1]
	s_cbranch_execz .LBB30_34
.LBB30_52:                              ;   in Loop: Header=BB30_35 Depth=1
	ds_write_b32 v3, v9 offset:2076
	s_branch .LBB30_34
.LBB30_53:
	s_or_b64 exec, exec, s[18:19]
	s_ashr_i32 s17, s16, 31
	s_lshl_b64 s[0:1], s[16:17], 3
	s_add_u32 s4, s24, s0
	s_addc_u32 s5, s25, s1
	s_load_dwordx4 s[0:3], s[4:5], 0x0
	s_waitcnt lgkmcnt(0)
	s_sub_i32 s8, s2, s0
	v_cmp_gt_i32_e32 vcc, s8, v0
	s_and_saveexec_b64 s[4:5], vcc
	s_cbranch_execz .LBB30_63
; %bb.54:
	s_sub_u32 s4, s0, s30
	s_subb_u32 s5, s1, 0
	s_and_b32 s9, s8, 7
	s_sub_i32 s0, s0, s2
	s_cmp_lt_u32 s0, -7
	s_cselect_b64 s[0:1], -1, 0
	s_and_b32 s10, s8, -8
	s_cmp_lg_u32 s9, 0
	v_cndmask_b32_e64 v1, 0, 1, s[0:1]
	s_mov_b64 s[2:3], 0
	s_cselect_b64 s[6:7], -1, 0
	v_cmp_ne_u32_e64 s[0:1], 1, v1
	s_branch .LBB30_56
.LBB30_55:                              ;   in Loop: Header=BB30_56 Depth=1
	v_lshlrev_b64 v[1:2], 2, v[1:2]
	v_mov_b32_e32 v4, s27
	v_add_co_u32_e32 v1, vcc, s26, v1
	v_addc_co_u32_e32 v2, vcc, v4, v2, vcc
	v_add_u32_e32 v0, 0x100, v0
	v_cmp_le_i32_e32 vcc, s8, v0
	s_waitcnt lgkmcnt(0)
	v_add_u32_e32 v3, s30, v3
	s_or_b64 s[2:3], vcc, s[2:3]
	global_store_dword v[1:2], v3, off
	s_andn2_b64 exec, exec, s[2:3]
	s_cbranch_execz .LBB30_63
.LBB30_56:                              ; =>This Loop Header: Depth=1
                                        ;     Child Loop BB30_58 Depth 2
                                        ;     Child Loop BB30_62 Depth 2
	v_lshl_add_u32 v1, v0, 2, 0
	ds_read_b32 v3, v1
	v_mov_b32_e32 v1, s4
	s_and_b64 vcc, exec, s[0:1]
	v_mov_b32_e32 v2, s5
	s_mov_b32 s11, 0
	s_cbranch_vccnz .LBB30_60
; %bb.57:                               ;   in Loop: Header=BB30_56 Depth=1
	v_mov_b32_e32 v1, s4
	s_mov_b32 s12, 0
	v_mov_b32_e32 v2, s5
.LBB30_58:                              ;   Parent Loop BB30_56 Depth=1
                                        ; =>  This Inner Loop Header: Depth=2
	v_mov_b32_e32 v10, s12
	ds_read2_b32 v[4:5], v10 offset1:1
	ds_read2_b32 v[6:7], v10 offset0:2 offset1:3
	ds_read2_b32 v[8:9], v10 offset0:4 offset1:5
	;; [unrolled: 1-line block ×3, first 2 shown]
	s_add_i32 s11, s11, 8
	s_waitcnt lgkmcnt(3)
	v_cmp_gt_i32_e32 vcc, v3, v4
	v_cndmask_b32_e64 v4, 0, 1, vcc
	v_cmp_gt_i32_e32 vcc, v3, v5
	v_cndmask_b32_e64 v5, 0, 1, vcc
	s_waitcnt lgkmcnt(2)
	v_cmp_gt_i32_e32 vcc, v3, v6
	v_cndmask_b32_e64 v6, 0, 1, vcc
	v_cmp_gt_i32_e32 vcc, v3, v7
	v_cndmask_b32_e64 v7, 0, 1, vcc
	;; [unrolled: 5-line block ×4, first 2 shown]
	v_add_co_u32_e32 v1, vcc, v1, v4
	v_addc_co_u32_e32 v2, vcc, 0, v2, vcc
	v_add_co_u32_e32 v1, vcc, v1, v5
	v_addc_co_u32_e32 v2, vcc, 0, v2, vcc
	;; [unrolled: 2-line block ×7, first 2 shown]
	s_add_i32 s12, s12, 32
	v_add_co_u32_e32 v1, vcc, v1, v11
	s_cmp_eq_u32 s10, s11
	v_addc_co_u32_e32 v2, vcc, 0, v2, vcc
	s_cbranch_scc0 .LBB30_58
; %bb.59:                               ;   in Loop: Header=BB30_56 Depth=1
	s_mov_b32 s11, s10
.LBB30_60:                              ;   in Loop: Header=BB30_56 Depth=1
	s_andn2_b64 vcc, exec, s[6:7]
	s_cbranch_vccnz .LBB30_55
; %bb.61:                               ;   in Loop: Header=BB30_56 Depth=1
	s_lshl_b32 s11, s11, 2
	s_add_i32 s11, s11, 0
	s_mov_b32 s12, s9
.LBB30_62:                              ;   Parent Loop BB30_56 Depth=1
                                        ; =>  This Inner Loop Header: Depth=2
	v_mov_b32_e32 v4, s11
	ds_read_b32 v4, v4
	s_add_i32 s11, s11, 4
	s_add_i32 s12, s12, -1
	s_cmp_lg_u32 s12, 0
	s_waitcnt lgkmcnt(0)
	v_cmp_gt_i32_e32 vcc, v3, v4
	v_cndmask_b32_e64 v4, 0, 1, vcc
	v_add_co_u32_e32 v1, vcc, v1, v4
	v_addc_co_u32_e32 v2, vcc, 0, v2, vcc
	s_cbranch_scc1 .LBB30_62
	s_branch .LBB30_55
.LBB30_63:
	s_endpgm
	.section	.rodata,"a",@progbits
	.p2align	6, 0x0
	.amdhsa_kernel _ZN9rocsparseL35csrgemm_symbolic_fill_block_per_rowILj256ELj32ELj512ELj137ELj32EliEEvT5_PKS1_S3_PKT4_S3_S6_S3_S6_S3_S6_PS1_21rocsparse_index_base_S8_S8_S8_bb
		.amdhsa_group_segment_fixed_size 0
		.amdhsa_private_segment_fixed_size 0
		.amdhsa_kernarg_size 108
		.amdhsa_user_sgpr_count 6
		.amdhsa_user_sgpr_private_segment_buffer 1
		.amdhsa_user_sgpr_dispatch_ptr 0
		.amdhsa_user_sgpr_queue_ptr 0
		.amdhsa_user_sgpr_kernarg_segment_ptr 1
		.amdhsa_user_sgpr_dispatch_id 0
		.amdhsa_user_sgpr_flat_scratch_init 0
		.amdhsa_user_sgpr_private_segment_size 0
		.amdhsa_uses_dynamic_stack 0
		.amdhsa_system_sgpr_private_segment_wavefront_offset 0
		.amdhsa_system_sgpr_workgroup_id_x 1
		.amdhsa_system_sgpr_workgroup_id_y 0
		.amdhsa_system_sgpr_workgroup_id_z 0
		.amdhsa_system_sgpr_workgroup_info 0
		.amdhsa_system_vgpr_workitem_id 0
		.amdhsa_next_free_vgpr 17
		.amdhsa_next_free_sgpr 45
		.amdhsa_reserve_vcc 1
		.amdhsa_reserve_flat_scratch 0
		.amdhsa_float_round_mode_32 0
		.amdhsa_float_round_mode_16_64 0
		.amdhsa_float_denorm_mode_32 3
		.amdhsa_float_denorm_mode_16_64 3
		.amdhsa_dx10_clamp 1
		.amdhsa_ieee_mode 1
		.amdhsa_fp16_overflow 0
		.amdhsa_exception_fp_ieee_invalid_op 0
		.amdhsa_exception_fp_denorm_src 0
		.amdhsa_exception_fp_ieee_div_zero 0
		.amdhsa_exception_fp_ieee_overflow 0
		.amdhsa_exception_fp_ieee_underflow 0
		.amdhsa_exception_fp_ieee_inexact 0
		.amdhsa_exception_int_div_zero 0
	.end_amdhsa_kernel
	.section	.text._ZN9rocsparseL35csrgemm_symbolic_fill_block_per_rowILj256ELj32ELj512ELj137ELj32EliEEvT5_PKS1_S3_PKT4_S3_S6_S3_S6_S3_S6_PS1_21rocsparse_index_base_S8_S8_S8_bb,"axG",@progbits,_ZN9rocsparseL35csrgemm_symbolic_fill_block_per_rowILj256ELj32ELj512ELj137ELj32EliEEvT5_PKS1_S3_PKT4_S3_S6_S3_S6_S3_S6_PS1_21rocsparse_index_base_S8_S8_S8_bb,comdat
.Lfunc_end30:
	.size	_ZN9rocsparseL35csrgemm_symbolic_fill_block_per_rowILj256ELj32ELj512ELj137ELj32EliEEvT5_PKS1_S3_PKT4_S3_S6_S3_S6_S3_S6_PS1_21rocsparse_index_base_S8_S8_S8_bb, .Lfunc_end30-_ZN9rocsparseL35csrgemm_symbolic_fill_block_per_rowILj256ELj32ELj512ELj137ELj32EliEEvT5_PKS1_S3_PKT4_S3_S6_S3_S6_S3_S6_PS1_21rocsparse_index_base_S8_S8_S8_bb
                                        ; -- End function
	.set _ZN9rocsparseL35csrgemm_symbolic_fill_block_per_rowILj256ELj32ELj512ELj137ELj32EliEEvT5_PKS1_S3_PKT4_S3_S6_S3_S6_S3_S6_PS1_21rocsparse_index_base_S8_S8_S8_bb.num_vgpr, 17
	.set _ZN9rocsparseL35csrgemm_symbolic_fill_block_per_rowILj256ELj32ELj512ELj137ELj32EliEEvT5_PKS1_S3_PKT4_S3_S6_S3_S6_S3_S6_PS1_21rocsparse_index_base_S8_S8_S8_bb.num_agpr, 0
	.set _ZN9rocsparseL35csrgemm_symbolic_fill_block_per_rowILj256ELj32ELj512ELj137ELj32EliEEvT5_PKS1_S3_PKT4_S3_S6_S3_S6_S3_S6_PS1_21rocsparse_index_base_S8_S8_S8_bb.numbered_sgpr, 45
	.set _ZN9rocsparseL35csrgemm_symbolic_fill_block_per_rowILj256ELj32ELj512ELj137ELj32EliEEvT5_PKS1_S3_PKT4_S3_S6_S3_S6_S3_S6_PS1_21rocsparse_index_base_S8_S8_S8_bb.num_named_barrier, 0
	.set _ZN9rocsparseL35csrgemm_symbolic_fill_block_per_rowILj256ELj32ELj512ELj137ELj32EliEEvT5_PKS1_S3_PKT4_S3_S6_S3_S6_S3_S6_PS1_21rocsparse_index_base_S8_S8_S8_bb.private_seg_size, 0
	.set _ZN9rocsparseL35csrgemm_symbolic_fill_block_per_rowILj256ELj32ELj512ELj137ELj32EliEEvT5_PKS1_S3_PKT4_S3_S6_S3_S6_S3_S6_PS1_21rocsparse_index_base_S8_S8_S8_bb.uses_vcc, 1
	.set _ZN9rocsparseL35csrgemm_symbolic_fill_block_per_rowILj256ELj32ELj512ELj137ELj32EliEEvT5_PKS1_S3_PKT4_S3_S6_S3_S6_S3_S6_PS1_21rocsparse_index_base_S8_S8_S8_bb.uses_flat_scratch, 0
	.set _ZN9rocsparseL35csrgemm_symbolic_fill_block_per_rowILj256ELj32ELj512ELj137ELj32EliEEvT5_PKS1_S3_PKT4_S3_S6_S3_S6_S3_S6_PS1_21rocsparse_index_base_S8_S8_S8_bb.has_dyn_sized_stack, 0
	.set _ZN9rocsparseL35csrgemm_symbolic_fill_block_per_rowILj256ELj32ELj512ELj137ELj32EliEEvT5_PKS1_S3_PKT4_S3_S6_S3_S6_S3_S6_PS1_21rocsparse_index_base_S8_S8_S8_bb.has_recursion, 0
	.set _ZN9rocsparseL35csrgemm_symbolic_fill_block_per_rowILj256ELj32ELj512ELj137ELj32EliEEvT5_PKS1_S3_PKT4_S3_S6_S3_S6_S3_S6_PS1_21rocsparse_index_base_S8_S8_S8_bb.has_indirect_call, 0
	.section	.AMDGPU.csdata,"",@progbits
; Kernel info:
; codeLenInByte = 2224
; TotalNumSgprs: 49
; NumVgprs: 17
; ScratchSize: 0
; MemoryBound: 0
; FloatMode: 240
; IeeeMode: 1
; LDSByteSize: 0 bytes/workgroup (compile time only)
; SGPRBlocks: 6
; VGPRBlocks: 4
; NumSGPRsForWavesPerEU: 49
; NumVGPRsForWavesPerEU: 17
; Occupancy: 10
; WaveLimiterHint : 1
; COMPUTE_PGM_RSRC2:SCRATCH_EN: 0
; COMPUTE_PGM_RSRC2:USER_SGPR: 6
; COMPUTE_PGM_RSRC2:TRAP_HANDLER: 0
; COMPUTE_PGM_RSRC2:TGID_X_EN: 1
; COMPUTE_PGM_RSRC2:TGID_Y_EN: 0
; COMPUTE_PGM_RSRC2:TGID_Z_EN: 0
; COMPUTE_PGM_RSRC2:TIDIG_COMP_CNT: 0
	.section	.text._ZN9rocsparseL35csrgemm_symbolic_fill_block_per_rowILj256ELj32ELj512ELj137ELj64EliEEvT5_PKS1_S3_PKT4_S3_S6_S3_S6_S3_S6_PS1_21rocsparse_index_base_S8_S8_S8_bb,"axG",@progbits,_ZN9rocsparseL35csrgemm_symbolic_fill_block_per_rowILj256ELj32ELj512ELj137ELj64EliEEvT5_PKS1_S3_PKT4_S3_S6_S3_S6_S3_S6_PS1_21rocsparse_index_base_S8_S8_S8_bb,comdat
	.globl	_ZN9rocsparseL35csrgemm_symbolic_fill_block_per_rowILj256ELj32ELj512ELj137ELj64EliEEvT5_PKS1_S3_PKT4_S3_S6_S3_S6_S3_S6_PS1_21rocsparse_index_base_S8_S8_S8_bb ; -- Begin function _ZN9rocsparseL35csrgemm_symbolic_fill_block_per_rowILj256ELj32ELj512ELj137ELj64EliEEvT5_PKS1_S3_PKT4_S3_S6_S3_S6_S3_S6_PS1_21rocsparse_index_base_S8_S8_S8_bb
	.p2align	8
	.type	_ZN9rocsparseL35csrgemm_symbolic_fill_block_per_rowILj256ELj32ELj512ELj137ELj64EliEEvT5_PKS1_S3_PKT4_S3_S6_S3_S6_S3_S6_PS1_21rocsparse_index_base_S8_S8_S8_bb,@function
_ZN9rocsparseL35csrgemm_symbolic_fill_block_per_rowILj256ELj32ELj512ELj137ELj64EliEEvT5_PKS1_S3_PKT4_S3_S6_S3_S6_S3_S6_PS1_21rocsparse_index_base_S8_S8_S8_bb: ; @_ZN9rocsparseL35csrgemm_symbolic_fill_block_per_rowILj256ELj32ELj512ELj137ELj64EliEEvT5_PKS1_S3_PKT4_S3_S6_S3_S6_S3_S6_PS1_21rocsparse_index_base_S8_S8_S8_bb
; %bb.0:
	s_load_dwordx4 s[24:27], s[4:5], 0x48
	s_load_dwordx8 s[8:15], s[4:5], 0x28
	s_load_dword s33, s[4:5], 0x0
	s_load_dwordx8 s[16:23], s[4:5], 0x8
	s_movk_i32 s0, 0x200
	v_cmp_gt_u32_e64 s[0:1], s0, v0
	v_lshl_add_u32 v7, v0, 2, 0
	s_and_saveexec_b64 s[2:3], s[0:1]
	s_cbranch_execz .LBB31_3
; %bb.1:
	v_or_b32_e32 v1, 0xffffff00, v0
	v_lshl_add_u32 v2, v0, 2, 0
	s_mov_b64 s[28:29], 0
	s_waitcnt lgkmcnt(0)
	v_mov_b32_e32 v3, s33
.LBB31_2:                               ; =>This Inner Loop Header: Depth=1
	v_add_co_u32_e32 v1, vcc, 0x100, v1
	s_xor_b64 s[30:31], vcc, -1
	s_and_b64 s[30:31], exec, s[30:31]
	ds_write_b32 v2, v3
	s_or_b64 s[28:29], s[30:31], s[28:29]
	v_add_u32_e32 v2, 0x400, v2
	s_andn2_b64 exec, exec, s[28:29]
	s_cbranch_execnz .LBB31_2
.LBB31_3:
	s_or_b64 exec, exec, s[2:3]
	s_load_dword s44, s[4:5], 0x68
	s_waitcnt lgkmcnt(0)
	s_barrier
	s_load_dword s7, s[16:17], 0x0
	s_load_dwordx4 s[28:31], s[4:5], 0x58
	s_bitcmp1_b32 s44, 0
	s_cselect_b64 s[2:3], -1, 0
	s_mov_b32 s5, 0
	s_waitcnt lgkmcnt(0)
	s_add_i32 s4, s7, s6
	s_lshl_b64 s[4:5], s[4:5], 2
	s_add_u32 s4, s18, s4
	s_addc_u32 s5, s19, s5
	s_load_dword s16, s[4:5], 0x0
	s_and_b64 vcc, exec, s[2:3]
	s_cbranch_vccz .LBB31_19
; %bb.4:
	s_waitcnt lgkmcnt(0)
	s_ashr_i32 s17, s16, 31
	s_lshl_b64 s[2:3], s[16:17], 3
	s_add_u32 s2, s20, s2
	s_addc_u32 s3, s21, s3
	s_load_dwordx4 s[4:7], s[2:3], 0x0
	v_lshrrev_b32_e32 v1, 5, v0
	v_subrev_co_u32_e32 v1, vcc, s28, v1
	s_waitcnt lgkmcnt(0)
	s_sub_u32 s2, s6, s28
	s_subb_u32 s3, s7, 0
	v_subb_co_u32_e64 v2, s[6:7], 0, 0, vcc
	v_mov_b32_e32 v3, s5
	v_add_co_u32_e32 v1, vcc, s4, v1
	v_addc_co_u32_e32 v2, vcc, v3, v2, vcc
	v_cmp_gt_i64_e32 vcc, s[2:3], v[1:2]
	s_and_saveexec_b64 s[4:5], vcc
	s_cbranch_execz .LBB31_18
; %bb.5:
	v_and_b32_e32 v3, 31, v0
	v_subrev_co_u32_e32 v8, vcc, s29, v3
	v_subb_co_u32_e64 v9, s[6:7], 0, 0, vcc
	s_mov_b32 s17, s29
	s_mov_b64 s[6:7], 0
	v_mov_b32_e32 v10, s23
	v_mov_b32_e32 v11, s9
	s_movk_i32 s9, 0x89
	s_branch .LBB31_7
.LBB31_6:                               ;   in Loop: Header=BB31_7 Depth=1
	s_or_b64 exec, exec, s[18:19]
	v_add_co_u32_e32 v1, vcc, 8, v1
	v_addc_co_u32_e32 v2, vcc, 0, v2, vcc
	v_cmp_le_i64_e32 vcc, s[2:3], v[1:2]
	s_or_b64 s[6:7], vcc, s[6:7]
	s_andn2_b64 exec, exec, s[6:7]
	s_cbranch_execz .LBB31_18
.LBB31_7:                               ; =>This Loop Header: Depth=1
                                        ;     Child Loop BB31_10 Depth 2
                                        ;       Child Loop BB31_13 Depth 3
	v_lshlrev_b64 v[3:4], 2, v[1:2]
	v_add_co_u32_e32 v3, vcc, s22, v3
	v_addc_co_u32_e32 v4, vcc, v10, v4, vcc
	global_load_dword v3, v[3:4], off
	s_waitcnt vmcnt(0)
	v_subrev_u32_e32 v3, s28, v3
	v_ashrrev_i32_e32 v4, 31, v3
	v_lshlrev_b64 v[3:4], 3, v[3:4]
	v_add_co_u32_e32 v3, vcc, s8, v3
	v_addc_co_u32_e32 v4, vcc, v11, v4, vcc
	global_load_dwordx4 v[12:15], v[3:4], off
	s_waitcnt vmcnt(0)
	v_subrev_co_u32_e32 v3, vcc, s17, v14
	v_subbrev_co_u32_e32 v4, vcc, 0, v15, vcc
	v_add_co_u32_e32 v5, vcc, v12, v8
	v_addc_co_u32_e32 v6, vcc, v13, v9, vcc
	v_cmp_lt_i64_e32 vcc, v[5:6], v[3:4]
	s_and_saveexec_b64 s[18:19], vcc
	s_cbranch_execz .LBB31_6
; %bb.8:                                ;   in Loop: Header=BB31_7 Depth=1
	s_mov_b64 s[20:21], 0
	s_branch .LBB31_10
.LBB31_9:                               ;   in Loop: Header=BB31_10 Depth=2
	s_or_b64 exec, exec, s[34:35]
	v_add_co_u32_e32 v5, vcc, 32, v5
	v_addc_co_u32_e32 v6, vcc, 0, v6, vcc
	v_cmp_ge_i64_e32 vcc, v[5:6], v[3:4]
	s_or_b64 s[20:21], vcc, s[20:21]
	s_andn2_b64 exec, exec, s[20:21]
	s_cbranch_execz .LBB31_6
.LBB31_10:                              ;   Parent Loop BB31_7 Depth=1
                                        ; =>  This Loop Header: Depth=2
                                        ;       Child Loop BB31_13 Depth 3
	v_lshlrev_b64 v[12:13], 2, v[5:6]
	v_mov_b32_e32 v14, s11
	v_add_co_u32_e32 v12, vcc, s10, v12
	v_addc_co_u32_e32 v13, vcc, v14, v13, vcc
	global_load_dword v12, v[12:13], off
	s_mov_b64 s[34:35], 0
                                        ; implicit-def: $sgpr36_sgpr37
	s_waitcnt vmcnt(0)
	v_subrev_u32_e32 v12, s29, v12
	v_mul_lo_u32 v13, v12, s9
	v_and_b32_e32 v13, 0x1ff, v13
	s_branch .LBB31_13
.LBB31_11:                              ;   in Loop: Header=BB31_13 Depth=3
	s_or_b64 exec, exec, s[40:41]
	s_andn2_b64 s[36:37], s[36:37], exec
	s_and_b64 s[40:41], s[42:43], exec
	s_or_b64 s[36:37], s[36:37], s[40:41]
.LBB31_12:                              ;   in Loop: Header=BB31_13 Depth=3
	s_or_b64 exec, exec, s[38:39]
	s_xor_b64 s[38:39], s[36:37], -1
	s_and_b64 s[38:39], exec, s[38:39]
	s_or_b64 s[34:35], s[38:39], s[34:35]
	s_andn2_b64 exec, exec, s[34:35]
	s_cbranch_execz .LBB31_9
.LBB31_13:                              ;   Parent Loop BB31_7 Depth=1
                                        ;     Parent Loop BB31_10 Depth=2
                                        ; =>    This Inner Loop Header: Depth=3
	v_lshl_add_u32 v14, v13, 2, 0
	ds_read_b32 v15, v14
	s_andn2_b64 s[36:37], s[36:37], exec
	s_waitcnt lgkmcnt(0)
	v_cmp_ne_u32_e32 vcc, v15, v12
	s_and_saveexec_b64 s[38:39], vcc
	s_cbranch_execz .LBB31_12
; %bb.14:                               ;   in Loop: Header=BB31_13 Depth=3
	v_cmp_ne_u32_e32 vcc, s33, v15
	s_and_saveexec_b64 s[40:41], vcc
	s_xor_b64 s[40:41], exec, s[40:41]
; %bb.15:                               ;   in Loop: Header=BB31_13 Depth=3
	v_add_u32_e32 v13, 1, v13
	v_and_b32_e32 v13, 0x1ff, v13
                                        ; implicit-def: $vgpr14
; %bb.16:                               ;   in Loop: Header=BB31_13 Depth=3
	s_or_saveexec_b64 s[40:41], s[40:41]
	s_mov_b64 s[42:43], -1
	s_xor_b64 exec, exec, s[40:41]
	s_cbranch_execz .LBB31_11
; %bb.17:                               ;   in Loop: Header=BB31_13 Depth=3
	v_mov_b32_e32 v15, s33
	ds_cmpst_rtn_b32 v14, v14, v15, v12
	s_waitcnt lgkmcnt(0)
	v_cmp_ne_u32_e32 vcc, s33, v14
	s_orn2_b64 s[42:43], vcc, exec
	s_branch .LBB31_11
.LBB31_18:
	s_or_b64 exec, exec, s[4:5]
.LBB31_19:
	s_bfe_u32 s2, s44, 0x10008
	s_cmp_eq_u32 s2, 0
	s_cbranch_scc1 .LBB31_32
; %bb.20:
	s_waitcnt lgkmcnt(0)
	s_ashr_i32 s17, s16, 31
	s_lshl_b64 s[2:3], s[16:17], 3
	s_add_u32 s2, s12, s2
	s_addc_u32 s3, s13, s3
	s_load_dwordx4 s[4:7], s[2:3], 0x0
	v_subrev_co_u32_e32 v1, vcc, s31, v0
	v_subb_co_u32_e64 v2, s[2:3], 0, 0, vcc
	s_waitcnt lgkmcnt(0)
	s_sub_u32 s2, s6, s31
	v_mov_b32_e32 v3, s5
	v_add_co_u32_e32 v1, vcc, s4, v1
	s_subb_u32 s3, s7, 0
	v_addc_co_u32_e32 v2, vcc, v3, v2, vcc
	v_cmp_gt_i64_e32 vcc, s[2:3], v[1:2]
	s_and_saveexec_b64 s[4:5], vcc
	s_cbranch_execz .LBB31_31
; %bb.21:
	s_mov_b64 s[6:7], 0
	v_mov_b32_e32 v3, s15
	s_movk_i32 s15, 0x89
	s_branch .LBB31_23
.LBB31_22:                              ;   in Loop: Header=BB31_23 Depth=1
	s_or_b64 exec, exec, s[8:9]
	v_add_co_u32_e32 v1, vcc, 0x100, v1
	v_addc_co_u32_e32 v2, vcc, 0, v2, vcc
	v_cmp_le_i64_e32 vcc, s[2:3], v[1:2]
	s_or_b64 s[6:7], vcc, s[6:7]
	s_andn2_b64 exec, exec, s[6:7]
	s_cbranch_execz .LBB31_31
.LBB31_23:                              ; =>This Loop Header: Depth=1
                                        ;     Child Loop BB31_26 Depth 2
	v_lshlrev_b64 v[4:5], 2, v[1:2]
	s_mov_b64 s[8:9], 0
	v_add_co_u32_e32 v4, vcc, s14, v4
	v_addc_co_u32_e32 v5, vcc, v3, v5, vcc
	global_load_dword v4, v[4:5], off
                                        ; implicit-def: $sgpr10_sgpr11
	s_waitcnt vmcnt(0)
	v_subrev_u32_e32 v4, s31, v4
	v_mul_lo_u32 v5, v4, s15
	v_and_b32_e32 v5, 0x1ff, v5
	s_branch .LBB31_26
.LBB31_24:                              ;   in Loop: Header=BB31_26 Depth=2
	s_or_b64 exec, exec, s[18:19]
	s_andn2_b64 s[10:11], s[10:11], exec
	s_and_b64 s[18:19], s[20:21], exec
	s_or_b64 s[10:11], s[10:11], s[18:19]
.LBB31_25:                              ;   in Loop: Header=BB31_26 Depth=2
	s_or_b64 exec, exec, s[12:13]
	s_xor_b64 s[12:13], s[10:11], -1
	s_and_b64 s[12:13], exec, s[12:13]
	s_or_b64 s[8:9], s[12:13], s[8:9]
	s_andn2_b64 exec, exec, s[8:9]
	s_cbranch_execz .LBB31_22
.LBB31_26:                              ;   Parent Loop BB31_23 Depth=1
                                        ; =>  This Inner Loop Header: Depth=2
	v_lshl_add_u32 v6, v5, 2, 0
	ds_read_b32 v8, v6
	s_andn2_b64 s[10:11], s[10:11], exec
	s_waitcnt lgkmcnt(0)
	v_cmp_ne_u32_e32 vcc, v8, v4
	s_and_saveexec_b64 s[12:13], vcc
	s_cbranch_execz .LBB31_25
; %bb.27:                               ;   in Loop: Header=BB31_26 Depth=2
	v_cmp_ne_u32_e32 vcc, s33, v8
	s_and_saveexec_b64 s[18:19], vcc
	s_xor_b64 s[18:19], exec, s[18:19]
; %bb.28:                               ;   in Loop: Header=BB31_26 Depth=2
	v_add_u32_e32 v5, 1, v5
	v_and_b32_e32 v5, 0x1ff, v5
                                        ; implicit-def: $vgpr6
; %bb.29:                               ;   in Loop: Header=BB31_26 Depth=2
	s_or_saveexec_b64 s[18:19], s[18:19]
	s_mov_b64 s[20:21], -1
	s_xor_b64 exec, exec, s[18:19]
	s_cbranch_execz .LBB31_24
; %bb.30:                               ;   in Loop: Header=BB31_26 Depth=2
	v_mov_b32_e32 v8, s33
	ds_cmpst_rtn_b32 v6, v6, v8, v4
	s_waitcnt lgkmcnt(0)
	v_cmp_ne_u32_e32 vcc, s33, v6
	s_orn2_b64 s[20:21], vcc, exec
	s_branch .LBB31_24
.LBB31_31:
	s_or_b64 exec, exec, s[4:5]
.LBB31_32:
	s_waitcnt lgkmcnt(0)
	s_barrier
	s_and_saveexec_b64 s[8:9], s[0:1]
	s_cbranch_execz .LBB31_45
; %bb.33:
	v_mbcnt_lo_u32_b32 v1, -1, 0
	v_mbcnt_hi_u32_b32 v1, -1, v1
	v_sub_u32_e32 v1, 63, v1
	v_lshrrev_b32_e32 v4, 4, v0
	v_lshrrev_b64 v[1:2], v1, -1
	v_and_b32_e32 v4, 12, v4
	s_movk_i32 s0, 0xff
	s_movk_i32 s4, 0x7f
	;; [unrolled: 1-line block ×3, first 2 shown]
	v_mov_b32_e32 v3, 0
	v_add_u32_e32 v4, 0, v4
	v_cmp_eq_u32_e64 s[0:1], s0, v0
	v_cmp_lt_u32_e64 s[2:3], 63, v0
	v_cmp_lt_u32_e64 s[4:5], s4, v0
	;; [unrolled: 1-line block ×3, first 2 shown]
	v_or_b32_e32 v5, 0xffffff00, v0
	s_mov_b64 s[10:11], 0
	v_mov_b32_e32 v6, 0
	s_branch .LBB31_35
.LBB31_34:                              ;   in Loop: Header=BB31_35 Depth=1
	s_or_b64 exec, exec, s[12:13]
	s_waitcnt lgkmcnt(0)
	s_barrier
	ds_read_b32 v8, v3 offset:2060
	v_add_co_u32_e32 v5, vcc, 0x100, v5
	s_xor_b64 s[12:13], vcc, -1
	s_and_b64 s[12:13], exec, s[12:13]
	s_waitcnt lgkmcnt(0)
	v_add_u32_e32 v6, v8, v6
	s_or_b64 s[10:11], s[12:13], s[10:11]
	v_add_u32_e32 v7, 0x400, v7
	s_andn2_b64 exec, exec, s[10:11]
	s_cbranch_execz .LBB31_45
.LBB31_35:                              ; =>This Inner Loop Header: Depth=1
	ds_read_b32 v8, v7
	s_waitcnt lgkmcnt(0)
	s_barrier
	v_cmp_gt_i32_e32 vcc, s33, v8
	v_and_b32_e32 v10, vcc_lo, v1
	s_bcnt1_i32_b64 s12, vcc
	v_and_b32_e32 v9, vcc_hi, v2
	v_bcnt_u32_b32 v10, v10, 0
	v_bcnt_u32_b32 v9, v9, v10
	v_mov_b32_e32 v10, s12
	ds_write_b32 v4, v10 offset:2048
	s_waitcnt lgkmcnt(0)
	s_barrier
	s_and_saveexec_b64 s[12:13], s[2:3]
	s_cbranch_execnz .LBB31_40
; %bb.36:                               ;   in Loop: Header=BB31_35 Depth=1
	s_or_b64 exec, exec, s[12:13]
	s_and_saveexec_b64 s[12:13], s[4:5]
	s_cbranch_execnz .LBB31_41
.LBB31_37:                              ;   in Loop: Header=BB31_35 Depth=1
	s_or_b64 exec, exec, s[12:13]
	s_and_saveexec_b64 s[12:13], s[6:7]
	s_cbranch_execnz .LBB31_42
.LBB31_38:                              ;   in Loop: Header=BB31_35 Depth=1
	s_or_b64 exec, exec, s[12:13]
	s_and_saveexec_b64 s[12:13], vcc
	s_cbranch_execnz .LBB31_43
.LBB31_39:                              ;   in Loop: Header=BB31_35 Depth=1
	s_or_b64 exec, exec, s[12:13]
	s_and_saveexec_b64 s[12:13], s[0:1]
	s_cbranch_execz .LBB31_34
	s_branch .LBB31_44
.LBB31_40:                              ;   in Loop: Header=BB31_35 Depth=1
	ds_read_b32 v10, v3 offset:2048
	s_waitcnt lgkmcnt(0)
	v_add_u32_e32 v9, v10, v9
	s_or_b64 exec, exec, s[12:13]
	s_and_saveexec_b64 s[12:13], s[4:5]
	s_cbranch_execz .LBB31_37
.LBB31_41:                              ;   in Loop: Header=BB31_35 Depth=1
	ds_read_b32 v10, v3 offset:2052
	s_waitcnt lgkmcnt(0)
	v_add_u32_e32 v9, v10, v9
	s_or_b64 exec, exec, s[12:13]
	s_and_saveexec_b64 s[12:13], s[6:7]
	s_cbranch_execz .LBB31_38
.LBB31_42:                              ;   in Loop: Header=BB31_35 Depth=1
	ds_read_b32 v10, v3 offset:2056
	s_waitcnt lgkmcnt(0)
	v_add_u32_e32 v9, v10, v9
	s_or_b64 exec, exec, s[12:13]
	s_and_saveexec_b64 s[12:13], vcc
	s_cbranch_execz .LBB31_39
.LBB31_43:                              ;   in Loop: Header=BB31_35 Depth=1
	v_lshlrev_b32_e32 v10, 2, v6
	v_add_u32_e32 v10, 0, v10
	v_lshlrev_b32_e32 v11, 2, v9
	v_add3_u32 v10, v10, v11, -4
	ds_write_b32 v10, v8
	s_or_b64 exec, exec, s[12:13]
	s_and_saveexec_b64 s[12:13], s[0:1]
	s_cbranch_execz .LBB31_34
.LBB31_44:                              ;   in Loop: Header=BB31_35 Depth=1
	ds_write_b32 v3, v9 offset:2060
	s_branch .LBB31_34
.LBB31_45:
	s_or_b64 exec, exec, s[8:9]
	s_ashr_i32 s17, s16, 31
	s_lshl_b64 s[0:1], s[16:17], 3
	s_add_u32 s4, s24, s0
	s_addc_u32 s5, s25, s1
	s_load_dwordx4 s[0:3], s[4:5], 0x0
	s_waitcnt lgkmcnt(0)
	s_sub_i32 s8, s2, s0
	v_cmp_gt_i32_e32 vcc, s8, v0
	s_and_saveexec_b64 s[4:5], vcc
	s_cbranch_execz .LBB31_55
; %bb.46:
	s_sub_u32 s4, s0, s30
	s_subb_u32 s5, s1, 0
	s_and_b32 s9, s8, 7
	s_sub_i32 s0, s0, s2
	s_cmp_lt_u32 s0, -7
	s_cselect_b64 s[0:1], -1, 0
	s_and_b32 s10, s8, -8
	s_cmp_lg_u32 s9, 0
	v_cndmask_b32_e64 v1, 0, 1, s[0:1]
	s_mov_b64 s[2:3], 0
	s_cselect_b64 s[6:7], -1, 0
	v_cmp_ne_u32_e64 s[0:1], 1, v1
	s_branch .LBB31_48
.LBB31_47:                              ;   in Loop: Header=BB31_48 Depth=1
	v_lshlrev_b64 v[1:2], 2, v[1:2]
	v_mov_b32_e32 v4, s27
	v_add_co_u32_e32 v1, vcc, s26, v1
	v_addc_co_u32_e32 v2, vcc, v4, v2, vcc
	v_add_u32_e32 v0, 0x100, v0
	v_cmp_le_i32_e32 vcc, s8, v0
	s_waitcnt lgkmcnt(0)
	v_add_u32_e32 v3, s30, v3
	s_or_b64 s[2:3], vcc, s[2:3]
	global_store_dword v[1:2], v3, off
	s_andn2_b64 exec, exec, s[2:3]
	s_cbranch_execz .LBB31_55
.LBB31_48:                              ; =>This Loop Header: Depth=1
                                        ;     Child Loop BB31_50 Depth 2
                                        ;     Child Loop BB31_54 Depth 2
	v_lshl_add_u32 v1, v0, 2, 0
	ds_read_b32 v3, v1
	v_mov_b32_e32 v1, s4
	s_and_b64 vcc, exec, s[0:1]
	v_mov_b32_e32 v2, s5
	s_mov_b32 s11, 0
	s_cbranch_vccnz .LBB31_52
; %bb.49:                               ;   in Loop: Header=BB31_48 Depth=1
	v_mov_b32_e32 v1, s4
	s_mov_b32 s12, 0
	v_mov_b32_e32 v2, s5
.LBB31_50:                              ;   Parent Loop BB31_48 Depth=1
                                        ; =>  This Inner Loop Header: Depth=2
	v_mov_b32_e32 v10, s12
	ds_read2_b32 v[4:5], v10 offset1:1
	ds_read2_b32 v[6:7], v10 offset0:2 offset1:3
	ds_read2_b32 v[8:9], v10 offset0:4 offset1:5
	;; [unrolled: 1-line block ×3, first 2 shown]
	s_add_i32 s11, s11, 8
	s_waitcnt lgkmcnt(3)
	v_cmp_gt_i32_e32 vcc, v3, v4
	v_cndmask_b32_e64 v4, 0, 1, vcc
	v_cmp_gt_i32_e32 vcc, v3, v5
	v_cndmask_b32_e64 v5, 0, 1, vcc
	s_waitcnt lgkmcnt(2)
	v_cmp_gt_i32_e32 vcc, v3, v6
	v_cndmask_b32_e64 v6, 0, 1, vcc
	v_cmp_gt_i32_e32 vcc, v3, v7
	v_cndmask_b32_e64 v7, 0, 1, vcc
	;; [unrolled: 5-line block ×4, first 2 shown]
	v_add_co_u32_e32 v1, vcc, v1, v4
	v_addc_co_u32_e32 v2, vcc, 0, v2, vcc
	v_add_co_u32_e32 v1, vcc, v1, v5
	v_addc_co_u32_e32 v2, vcc, 0, v2, vcc
	;; [unrolled: 2-line block ×7, first 2 shown]
	s_add_i32 s12, s12, 32
	v_add_co_u32_e32 v1, vcc, v1, v11
	s_cmp_eq_u32 s10, s11
	v_addc_co_u32_e32 v2, vcc, 0, v2, vcc
	s_cbranch_scc0 .LBB31_50
; %bb.51:                               ;   in Loop: Header=BB31_48 Depth=1
	s_mov_b32 s11, s10
.LBB31_52:                              ;   in Loop: Header=BB31_48 Depth=1
	s_andn2_b64 vcc, exec, s[6:7]
	s_cbranch_vccnz .LBB31_47
; %bb.53:                               ;   in Loop: Header=BB31_48 Depth=1
	s_lshl_b32 s11, s11, 2
	s_add_i32 s11, s11, 0
	s_mov_b32 s12, s9
.LBB31_54:                              ;   Parent Loop BB31_48 Depth=1
                                        ; =>  This Inner Loop Header: Depth=2
	v_mov_b32_e32 v4, s11
	ds_read_b32 v4, v4
	s_add_i32 s11, s11, 4
	s_add_i32 s12, s12, -1
	s_cmp_lg_u32 s12, 0
	s_waitcnt lgkmcnt(0)
	v_cmp_gt_i32_e32 vcc, v3, v4
	v_cndmask_b32_e64 v4, 0, 1, vcc
	v_add_co_u32_e32 v1, vcc, v1, v4
	v_addc_co_u32_e32 v2, vcc, 0, v2, vcc
	s_cbranch_scc1 .LBB31_54
	s_branch .LBB31_47
.LBB31_55:
	s_endpgm
	.section	.rodata,"a",@progbits
	.p2align	6, 0x0
	.amdhsa_kernel _ZN9rocsparseL35csrgemm_symbolic_fill_block_per_rowILj256ELj32ELj512ELj137ELj64EliEEvT5_PKS1_S3_PKT4_S3_S6_S3_S6_S3_S6_PS1_21rocsparse_index_base_S8_S8_S8_bb
		.amdhsa_group_segment_fixed_size 0
		.amdhsa_private_segment_fixed_size 0
		.amdhsa_kernarg_size 108
		.amdhsa_user_sgpr_count 6
		.amdhsa_user_sgpr_private_segment_buffer 1
		.amdhsa_user_sgpr_dispatch_ptr 0
		.amdhsa_user_sgpr_queue_ptr 0
		.amdhsa_user_sgpr_kernarg_segment_ptr 1
		.amdhsa_user_sgpr_dispatch_id 0
		.amdhsa_user_sgpr_flat_scratch_init 0
		.amdhsa_user_sgpr_private_segment_size 0
		.amdhsa_uses_dynamic_stack 0
		.amdhsa_system_sgpr_private_segment_wavefront_offset 0
		.amdhsa_system_sgpr_workgroup_id_x 1
		.amdhsa_system_sgpr_workgroup_id_y 0
		.amdhsa_system_sgpr_workgroup_id_z 0
		.amdhsa_system_sgpr_workgroup_info 0
		.amdhsa_system_vgpr_workitem_id 0
		.amdhsa_next_free_vgpr 16
		.amdhsa_next_free_sgpr 45
		.amdhsa_reserve_vcc 1
		.amdhsa_reserve_flat_scratch 0
		.amdhsa_float_round_mode_32 0
		.amdhsa_float_round_mode_16_64 0
		.amdhsa_float_denorm_mode_32 3
		.amdhsa_float_denorm_mode_16_64 3
		.amdhsa_dx10_clamp 1
		.amdhsa_ieee_mode 1
		.amdhsa_fp16_overflow 0
		.amdhsa_exception_fp_ieee_invalid_op 0
		.amdhsa_exception_fp_denorm_src 0
		.amdhsa_exception_fp_ieee_div_zero 0
		.amdhsa_exception_fp_ieee_overflow 0
		.amdhsa_exception_fp_ieee_underflow 0
		.amdhsa_exception_fp_ieee_inexact 0
		.amdhsa_exception_int_div_zero 0
	.end_amdhsa_kernel
	.section	.text._ZN9rocsparseL35csrgemm_symbolic_fill_block_per_rowILj256ELj32ELj512ELj137ELj64EliEEvT5_PKS1_S3_PKT4_S3_S6_S3_S6_S3_S6_PS1_21rocsparse_index_base_S8_S8_S8_bb,"axG",@progbits,_ZN9rocsparseL35csrgemm_symbolic_fill_block_per_rowILj256ELj32ELj512ELj137ELj64EliEEvT5_PKS1_S3_PKT4_S3_S6_S3_S6_S3_S6_PS1_21rocsparse_index_base_S8_S8_S8_bb,comdat
.Lfunc_end31:
	.size	_ZN9rocsparseL35csrgemm_symbolic_fill_block_per_rowILj256ELj32ELj512ELj137ELj64EliEEvT5_PKS1_S3_PKT4_S3_S6_S3_S6_S3_S6_PS1_21rocsparse_index_base_S8_S8_S8_bb, .Lfunc_end31-_ZN9rocsparseL35csrgemm_symbolic_fill_block_per_rowILj256ELj32ELj512ELj137ELj64EliEEvT5_PKS1_S3_PKT4_S3_S6_S3_S6_S3_S6_PS1_21rocsparse_index_base_S8_S8_S8_bb
                                        ; -- End function
	.set _ZN9rocsparseL35csrgemm_symbolic_fill_block_per_rowILj256ELj32ELj512ELj137ELj64EliEEvT5_PKS1_S3_PKT4_S3_S6_S3_S6_S3_S6_PS1_21rocsparse_index_base_S8_S8_S8_bb.num_vgpr, 16
	.set _ZN9rocsparseL35csrgemm_symbolic_fill_block_per_rowILj256ELj32ELj512ELj137ELj64EliEEvT5_PKS1_S3_PKT4_S3_S6_S3_S6_S3_S6_PS1_21rocsparse_index_base_S8_S8_S8_bb.num_agpr, 0
	.set _ZN9rocsparseL35csrgemm_symbolic_fill_block_per_rowILj256ELj32ELj512ELj137ELj64EliEEvT5_PKS1_S3_PKT4_S3_S6_S3_S6_S3_S6_PS1_21rocsparse_index_base_S8_S8_S8_bb.numbered_sgpr, 45
	.set _ZN9rocsparseL35csrgemm_symbolic_fill_block_per_rowILj256ELj32ELj512ELj137ELj64EliEEvT5_PKS1_S3_PKT4_S3_S6_S3_S6_S3_S6_PS1_21rocsparse_index_base_S8_S8_S8_bb.num_named_barrier, 0
	.set _ZN9rocsparseL35csrgemm_symbolic_fill_block_per_rowILj256ELj32ELj512ELj137ELj64EliEEvT5_PKS1_S3_PKT4_S3_S6_S3_S6_S3_S6_PS1_21rocsparse_index_base_S8_S8_S8_bb.private_seg_size, 0
	.set _ZN9rocsparseL35csrgemm_symbolic_fill_block_per_rowILj256ELj32ELj512ELj137ELj64EliEEvT5_PKS1_S3_PKT4_S3_S6_S3_S6_S3_S6_PS1_21rocsparse_index_base_S8_S8_S8_bb.uses_vcc, 1
	.set _ZN9rocsparseL35csrgemm_symbolic_fill_block_per_rowILj256ELj32ELj512ELj137ELj64EliEEvT5_PKS1_S3_PKT4_S3_S6_S3_S6_S3_S6_PS1_21rocsparse_index_base_S8_S8_S8_bb.uses_flat_scratch, 0
	.set _ZN9rocsparseL35csrgemm_symbolic_fill_block_per_rowILj256ELj32ELj512ELj137ELj64EliEEvT5_PKS1_S3_PKT4_S3_S6_S3_S6_S3_S6_PS1_21rocsparse_index_base_S8_S8_S8_bb.has_dyn_sized_stack, 0
	.set _ZN9rocsparseL35csrgemm_symbolic_fill_block_per_rowILj256ELj32ELj512ELj137ELj64EliEEvT5_PKS1_S3_PKT4_S3_S6_S3_S6_S3_S6_PS1_21rocsparse_index_base_S8_S8_S8_bb.has_recursion, 0
	.set _ZN9rocsparseL35csrgemm_symbolic_fill_block_per_rowILj256ELj32ELj512ELj137ELj64EliEEvT5_PKS1_S3_PKT4_S3_S6_S3_S6_S3_S6_PS1_21rocsparse_index_base_S8_S8_S8_bb.has_indirect_call, 0
	.section	.AMDGPU.csdata,"",@progbits
; Kernel info:
; codeLenInByte = 2024
; TotalNumSgprs: 49
; NumVgprs: 16
; ScratchSize: 0
; MemoryBound: 0
; FloatMode: 240
; IeeeMode: 1
; LDSByteSize: 0 bytes/workgroup (compile time only)
; SGPRBlocks: 6
; VGPRBlocks: 3
; NumSGPRsForWavesPerEU: 49
; NumVGPRsForWavesPerEU: 16
; Occupancy: 10
; WaveLimiterHint : 1
; COMPUTE_PGM_RSRC2:SCRATCH_EN: 0
; COMPUTE_PGM_RSRC2:USER_SGPR: 6
; COMPUTE_PGM_RSRC2:TRAP_HANDLER: 0
; COMPUTE_PGM_RSRC2:TGID_X_EN: 1
; COMPUTE_PGM_RSRC2:TGID_Y_EN: 0
; COMPUTE_PGM_RSRC2:TGID_Z_EN: 0
; COMPUTE_PGM_RSRC2:TIDIG_COMP_CNT: 0
	.section	.text._ZN9rocsparseL35csrgemm_symbolic_fill_block_per_rowILj512ELj32ELj1024ELj137ELj32EliEEvT5_PKS1_S3_PKT4_S3_S6_S3_S6_S3_S6_PS1_21rocsparse_index_base_S8_S8_S8_bb,"axG",@progbits,_ZN9rocsparseL35csrgemm_symbolic_fill_block_per_rowILj512ELj32ELj1024ELj137ELj32EliEEvT5_PKS1_S3_PKT4_S3_S6_S3_S6_S3_S6_PS1_21rocsparse_index_base_S8_S8_S8_bb,comdat
	.globl	_ZN9rocsparseL35csrgemm_symbolic_fill_block_per_rowILj512ELj32ELj1024ELj137ELj32EliEEvT5_PKS1_S3_PKT4_S3_S6_S3_S6_S3_S6_PS1_21rocsparse_index_base_S8_S8_S8_bb ; -- Begin function _ZN9rocsparseL35csrgemm_symbolic_fill_block_per_rowILj512ELj32ELj1024ELj137ELj32EliEEvT5_PKS1_S3_PKT4_S3_S6_S3_S6_S3_S6_PS1_21rocsparse_index_base_S8_S8_S8_bb
	.p2align	8
	.type	_ZN9rocsparseL35csrgemm_symbolic_fill_block_per_rowILj512ELj32ELj1024ELj137ELj32EliEEvT5_PKS1_S3_PKT4_S3_S6_S3_S6_S3_S6_PS1_21rocsparse_index_base_S8_S8_S8_bb,@function
_ZN9rocsparseL35csrgemm_symbolic_fill_block_per_rowILj512ELj32ELj1024ELj137ELj32EliEEvT5_PKS1_S3_PKT4_S3_S6_S3_S6_S3_S6_PS1_21rocsparse_index_base_S8_S8_S8_bb: ; @_ZN9rocsparseL35csrgemm_symbolic_fill_block_per_rowILj512ELj32ELj1024ELj137ELj32EliEEvT5_PKS1_S3_PKT4_S3_S6_S3_S6_S3_S6_PS1_21rocsparse_index_base_S8_S8_S8_bb
; %bb.0:
	s_load_dwordx4 s[36:39], s[4:5], 0x48
	s_load_dwordx8 s[8:15], s[4:5], 0x28
	s_load_dword s33, s[4:5], 0x0
	s_load_dwordx8 s[16:23], s[4:5], 0x8
	v_or_b32_e32 v7, 0xfffffe00, v0
	v_lshl_add_u32 v8, v0, 2, 0
	s_mov_b64 s[0:1], 0
	s_waitcnt lgkmcnt(0)
	v_mov_b32_e32 v1, s33
	v_mov_b32_e32 v2, v8
	;; [unrolled: 1-line block ×3, first 2 shown]
.LBB32_1:                               ; =>This Inner Loop Header: Depth=1
	v_add_co_u32_e32 v3, vcc, 0x200, v3
	s_xor_b64 s[2:3], vcc, -1
	s_and_b64 s[2:3], exec, s[2:3]
	ds_write_b32 v2, v1
	s_or_b64 s[0:1], s[2:3], s[0:1]
	v_add_u32_e32 v2, 0x800, v2
	s_andn2_b64 exec, exec, s[0:1]
	s_cbranch_execnz .LBB32_1
; %bb.2:
	s_or_b64 exec, exec, s[0:1]
	s_load_dword s30, s[4:5], 0x68
	s_waitcnt lgkmcnt(0)
	s_barrier
	s_load_dword s2, s[16:17], 0x0
	s_load_dwordx4 s[40:43], s[4:5], 0x58
	s_bitcmp1_b32 s30, 0
	s_cselect_b64 s[0:1], -1, 0
	s_mov_b32 s3, 0
	s_waitcnt lgkmcnt(0)
	s_add_i32 s2, s2, s6
	s_lshl_b64 s[2:3], s[2:3], 2
	s_add_u32 s2, s18, s2
	s_addc_u32 s3, s19, s3
	s_load_dword s34, s[2:3], 0x0
	v_lshrrev_b32_e32 v9, 5, v0
	s_and_b64 vcc, exec, s[0:1]
	s_cbranch_vccz .LBB32_18
; %bb.3:
	s_waitcnt lgkmcnt(0)
	s_ashr_i32 s35, s34, 31
	s_lshl_b64 s[0:1], s[34:35], 3
	s_add_u32 s0, s20, s0
	s_addc_u32 s1, s21, s1
	s_load_dwordx4 s[4:7], s[0:1], 0x0
	v_subrev_co_u32_e32 v1, vcc, s40, v9
	v_subb_co_u32_e64 v2, s[0:1], 0, 0, vcc
	s_waitcnt lgkmcnt(0)
	s_sub_u32 s0, s6, s40
	v_mov_b32_e32 v3, s5
	v_add_co_u32_e32 v1, vcc, s4, v1
	s_subb_u32 s1, s7, 0
	v_addc_co_u32_e32 v2, vcc, v3, v2, vcc
	v_cmp_gt_i64_e32 vcc, s[0:1], v[1:2]
	s_and_saveexec_b64 s[2:3], vcc
	s_cbranch_execz .LBB32_17
; %bb.4:
	v_and_b32_e32 v3, 31, v0
	v_subrev_co_u32_e32 v10, vcc, s41, v3
	v_subb_co_u32_e64 v11, s[4:5], 0, 0, vcc
	s_mov_b32 s31, s41
	s_mov_b64 s[4:5], 0
	v_mov_b32_e32 v12, s23
	v_mov_b32_e32 v13, s9
	s_movk_i32 s9, 0x89
	s_branch .LBB32_6
.LBB32_5:                               ;   in Loop: Header=BB32_6 Depth=1
	s_or_b64 exec, exec, s[6:7]
	v_add_co_u32_e32 v1, vcc, 16, v1
	v_addc_co_u32_e32 v2, vcc, 0, v2, vcc
	v_cmp_le_i64_e32 vcc, s[0:1], v[1:2]
	s_or_b64 s[4:5], vcc, s[4:5]
	s_andn2_b64 exec, exec, s[4:5]
	s_cbranch_execz .LBB32_17
.LBB32_6:                               ; =>This Loop Header: Depth=1
                                        ;     Child Loop BB32_9 Depth 2
                                        ;       Child Loop BB32_12 Depth 3
	v_lshlrev_b64 v[3:4], 2, v[1:2]
	v_add_co_u32_e32 v3, vcc, s22, v3
	v_addc_co_u32_e32 v4, vcc, v12, v4, vcc
	global_load_dword v3, v[3:4], off
	s_waitcnt vmcnt(0)
	v_subrev_u32_e32 v3, s40, v3
	v_ashrrev_i32_e32 v4, 31, v3
	v_lshlrev_b64 v[3:4], 3, v[3:4]
	v_add_co_u32_e32 v3, vcc, s8, v3
	v_addc_co_u32_e32 v4, vcc, v13, v4, vcc
	global_load_dwordx4 v[14:17], v[3:4], off
	s_waitcnt vmcnt(0)
	v_subrev_co_u32_e32 v3, vcc, s31, v16
	v_subbrev_co_u32_e32 v4, vcc, 0, v17, vcc
	v_add_co_u32_e32 v5, vcc, v14, v10
	v_addc_co_u32_e32 v6, vcc, v15, v11, vcc
	v_cmp_lt_i64_e32 vcc, v[5:6], v[3:4]
	s_and_saveexec_b64 s[6:7], vcc
	s_cbranch_execz .LBB32_5
; %bb.7:                                ;   in Loop: Header=BB32_6 Depth=1
	s_mov_b64 s[16:17], 0
	s_branch .LBB32_9
.LBB32_8:                               ;   in Loop: Header=BB32_9 Depth=2
	s_or_b64 exec, exec, s[18:19]
	v_add_co_u32_e32 v5, vcc, 32, v5
	v_addc_co_u32_e32 v6, vcc, 0, v6, vcc
	v_cmp_ge_i64_e32 vcc, v[5:6], v[3:4]
	s_or_b64 s[16:17], vcc, s[16:17]
	s_andn2_b64 exec, exec, s[16:17]
	s_cbranch_execz .LBB32_5
.LBB32_9:                               ;   Parent Loop BB32_6 Depth=1
                                        ; =>  This Loop Header: Depth=2
                                        ;       Child Loop BB32_12 Depth 3
	v_lshlrev_b64 v[14:15], 2, v[5:6]
	v_mov_b32_e32 v16, s11
	v_add_co_u32_e32 v14, vcc, s10, v14
	v_addc_co_u32_e32 v15, vcc, v16, v15, vcc
	global_load_dword v14, v[14:15], off
	s_mov_b64 s[18:19], 0
                                        ; implicit-def: $sgpr20_sgpr21
	s_waitcnt vmcnt(0)
	v_subrev_u32_e32 v14, s41, v14
	v_mul_lo_u32 v15, v14, s9
	v_and_b32_e32 v15, 0x3ff, v15
	s_branch .LBB32_12
.LBB32_10:                              ;   in Loop: Header=BB32_12 Depth=3
	s_or_b64 exec, exec, s[26:27]
	s_andn2_b64 s[20:21], s[20:21], exec
	s_and_b64 s[26:27], s[28:29], exec
	s_or_b64 s[20:21], s[20:21], s[26:27]
.LBB32_11:                              ;   in Loop: Header=BB32_12 Depth=3
	s_or_b64 exec, exec, s[24:25]
	s_xor_b64 s[24:25], s[20:21], -1
	s_and_b64 s[24:25], exec, s[24:25]
	s_or_b64 s[18:19], s[24:25], s[18:19]
	s_andn2_b64 exec, exec, s[18:19]
	s_cbranch_execz .LBB32_8
.LBB32_12:                              ;   Parent Loop BB32_6 Depth=1
                                        ;     Parent Loop BB32_9 Depth=2
                                        ; =>    This Inner Loop Header: Depth=3
	v_lshl_add_u32 v16, v15, 2, 0
	ds_read_b32 v17, v16
	s_andn2_b64 s[20:21], s[20:21], exec
	s_waitcnt lgkmcnt(0)
	v_cmp_ne_u32_e32 vcc, v17, v14
	s_and_saveexec_b64 s[24:25], vcc
	s_cbranch_execz .LBB32_11
; %bb.13:                               ;   in Loop: Header=BB32_12 Depth=3
	v_cmp_ne_u32_e32 vcc, s33, v17
	s_and_saveexec_b64 s[26:27], vcc
	s_xor_b64 s[26:27], exec, s[26:27]
; %bb.14:                               ;   in Loop: Header=BB32_12 Depth=3
	v_add_u32_e32 v15, 1, v15
	v_and_b32_e32 v15, 0x3ff, v15
                                        ; implicit-def: $vgpr16
; %bb.15:                               ;   in Loop: Header=BB32_12 Depth=3
	s_or_saveexec_b64 s[26:27], s[26:27]
	s_mov_b64 s[28:29], -1
	s_xor_b64 exec, exec, s[26:27]
	s_cbranch_execz .LBB32_10
; %bb.16:                               ;   in Loop: Header=BB32_12 Depth=3
	v_mov_b32_e32 v17, s33
	ds_cmpst_rtn_b32 v16, v16, v17, v14
	s_waitcnt lgkmcnt(0)
	v_cmp_ne_u32_e32 vcc, s33, v16
	s_orn2_b64 s[28:29], vcc, exec
	s_branch .LBB32_10
.LBB32_17:
	s_or_b64 exec, exec, s[2:3]
.LBB32_18:
	s_bfe_u32 s0, s30, 0x10008
	s_cmp_eq_u32 s0, 0
	s_cbranch_scc1 .LBB32_31
; %bb.19:
	s_waitcnt lgkmcnt(0)
	s_ashr_i32 s35, s34, 31
	s_lshl_b64 s[0:1], s[34:35], 3
	s_add_u32 s0, s12, s0
	s_addc_u32 s1, s13, s1
	s_load_dwordx4 s[4:7], s[0:1], 0x0
	v_subrev_co_u32_e32 v1, vcc, s43, v0
	v_subb_co_u32_e64 v2, s[0:1], 0, 0, vcc
	s_waitcnt lgkmcnt(0)
	s_sub_u32 s0, s6, s43
	v_mov_b32_e32 v3, s5
	v_add_co_u32_e32 v1, vcc, s4, v1
	s_subb_u32 s1, s7, 0
	v_addc_co_u32_e32 v2, vcc, v3, v2, vcc
	v_cmp_gt_i64_e32 vcc, s[0:1], v[1:2]
	s_and_saveexec_b64 s[2:3], vcc
	s_cbranch_execz .LBB32_30
; %bb.20:
	s_mov_b64 s[4:5], 0
	v_mov_b32_e32 v3, s15
	s_movk_i32 s15, 0x89
	s_branch .LBB32_22
.LBB32_21:                              ;   in Loop: Header=BB32_22 Depth=1
	s_or_b64 exec, exec, s[6:7]
	v_add_co_u32_e32 v1, vcc, 0x200, v1
	v_addc_co_u32_e32 v2, vcc, 0, v2, vcc
	v_cmp_le_i64_e32 vcc, s[0:1], v[1:2]
	s_or_b64 s[4:5], vcc, s[4:5]
	s_andn2_b64 exec, exec, s[4:5]
	s_cbranch_execz .LBB32_30
.LBB32_22:                              ; =>This Loop Header: Depth=1
                                        ;     Child Loop BB32_25 Depth 2
	v_lshlrev_b64 v[4:5], 2, v[1:2]
	s_mov_b64 s[6:7], 0
	v_add_co_u32_e32 v4, vcc, s14, v4
	v_addc_co_u32_e32 v5, vcc, v3, v5, vcc
	global_load_dword v4, v[4:5], off
                                        ; implicit-def: $sgpr8_sgpr9
	s_waitcnt vmcnt(0)
	v_subrev_u32_e32 v4, s43, v4
	v_mul_lo_u32 v5, v4, s15
	v_and_b32_e32 v5, 0x3ff, v5
	s_branch .LBB32_25
.LBB32_23:                              ;   in Loop: Header=BB32_25 Depth=2
	s_or_b64 exec, exec, s[12:13]
	s_andn2_b64 s[8:9], s[8:9], exec
	s_and_b64 s[12:13], s[16:17], exec
	s_or_b64 s[8:9], s[8:9], s[12:13]
.LBB32_24:                              ;   in Loop: Header=BB32_25 Depth=2
	s_or_b64 exec, exec, s[10:11]
	s_xor_b64 s[10:11], s[8:9], -1
	s_and_b64 s[10:11], exec, s[10:11]
	s_or_b64 s[6:7], s[10:11], s[6:7]
	s_andn2_b64 exec, exec, s[6:7]
	s_cbranch_execz .LBB32_21
.LBB32_25:                              ;   Parent Loop BB32_22 Depth=1
                                        ; =>  This Inner Loop Header: Depth=2
	v_lshl_add_u32 v6, v5, 2, 0
	ds_read_b32 v10, v6
	s_andn2_b64 s[8:9], s[8:9], exec
	s_waitcnt lgkmcnt(0)
	v_cmp_ne_u32_e32 vcc, v10, v4
	s_and_saveexec_b64 s[10:11], vcc
	s_cbranch_execz .LBB32_24
; %bb.26:                               ;   in Loop: Header=BB32_25 Depth=2
	v_cmp_ne_u32_e32 vcc, s33, v10
	s_and_saveexec_b64 s[12:13], vcc
	s_xor_b64 s[12:13], exec, s[12:13]
; %bb.27:                               ;   in Loop: Header=BB32_25 Depth=2
	v_add_u32_e32 v5, 1, v5
	v_and_b32_e32 v5, 0x3ff, v5
                                        ; implicit-def: $vgpr6
; %bb.28:                               ;   in Loop: Header=BB32_25 Depth=2
	s_or_saveexec_b64 s[12:13], s[12:13]
	s_mov_b64 s[16:17], -1
	s_xor_b64 exec, exec, s[12:13]
	s_cbranch_execz .LBB32_23
; %bb.29:                               ;   in Loop: Header=BB32_25 Depth=2
	v_mov_b32_e32 v10, s33
	ds_cmpst_rtn_b32 v6, v6, v10, v4
	s_waitcnt lgkmcnt(0)
	v_cmp_ne_u32_e32 vcc, s33, v6
	s_orn2_b64 s[16:17], vcc, exec
	s_branch .LBB32_23
.LBB32_30:
	s_or_b64 exec, exec, s[2:3]
.LBB32_31:
	v_mbcnt_lo_u32_b32 v1, -1, 0
	v_mbcnt_hi_u32_b32 v1, -1, v1
	v_sub_u32_e32 v1, 63, v1
	v_lshrrev_b64 v[1:2], v1, -1
	s_movk_i32 s0, 0x1ff
	s_movk_i32 s6, 0x5f
	;; [unrolled: 1-line block ×14, first 2 shown]
	v_mov_b32_e32 v3, 0
	v_lshl_add_u32 v4, v9, 2, 0
	v_cmp_eq_u32_e64 s[0:1], s0, v0
	v_cmp_lt_u32_e64 s[2:3], 31, v0
	v_cmp_lt_u32_e64 s[4:5], 63, v0
	;; [unrolled: 1-line block ×15, first 2 shown]
	s_mov_b64 s[40:41], 0
	v_mov_b32_e32 v5, 0
	s_waitcnt lgkmcnt(0)
	s_barrier
	s_branch .LBB32_33
.LBB32_32:                              ;   in Loop: Header=BB32_33 Depth=1
	s_or_b64 exec, exec, s[44:45]
	s_waitcnt lgkmcnt(0)
	s_barrier
	ds_read_b32 v6, v3 offset:4156
	v_add_co_u32_e32 v7, vcc, 0x200, v7
	s_xor_b64 s[44:45], vcc, -1
	s_and_b64 s[44:45], exec, s[44:45]
	s_waitcnt lgkmcnt(0)
	v_add_u32_e32 v5, v6, v5
	s_or_b64 s[40:41], s[44:45], s[40:41]
	v_add_u32_e32 v8, 0x800, v8
	s_andn2_b64 exec, exec, s[40:41]
	s_cbranch_execz .LBB32_67
.LBB32_33:                              ; =>This Inner Loop Header: Depth=1
	ds_read_b32 v6, v8
	s_waitcnt lgkmcnt(0)
	s_barrier
	v_cmp_gt_i32_e32 vcc, s33, v6
	v_and_b32_e32 v10, vcc_lo, v1
	s_bcnt1_i32_b64 s35, vcc
	v_and_b32_e32 v9, vcc_hi, v2
	v_bcnt_u32_b32 v10, v10, 0
	v_bcnt_u32_b32 v9, v9, v10
	v_mov_b32_e32 v10, s35
	ds_write_b32 v4, v10 offset:4096
	s_waitcnt lgkmcnt(0)
	s_barrier
	s_and_saveexec_b64 s[44:45], s[2:3]
	s_cbranch_execnz .LBB32_50
; %bb.34:                               ;   in Loop: Header=BB32_33 Depth=1
	s_or_b64 exec, exec, s[44:45]
	s_and_saveexec_b64 s[44:45], s[4:5]
	s_cbranch_execnz .LBB32_51
.LBB32_35:                              ;   in Loop: Header=BB32_33 Depth=1
	s_or_b64 exec, exec, s[44:45]
	s_and_saveexec_b64 s[44:45], s[6:7]
	s_cbranch_execnz .LBB32_52
.LBB32_36:                              ;   in Loop: Header=BB32_33 Depth=1
	s_or_b64 exec, exec, s[44:45]
	s_and_saveexec_b64 s[44:45], s[8:9]
	s_cbranch_execnz .LBB32_53
.LBB32_37:                              ;   in Loop: Header=BB32_33 Depth=1
	s_or_b64 exec, exec, s[44:45]
	s_and_saveexec_b64 s[44:45], s[10:11]
	s_cbranch_execnz .LBB32_54
.LBB32_38:                              ;   in Loop: Header=BB32_33 Depth=1
	s_or_b64 exec, exec, s[44:45]
	s_and_saveexec_b64 s[44:45], s[12:13]
	s_cbranch_execnz .LBB32_55
.LBB32_39:                              ;   in Loop: Header=BB32_33 Depth=1
	s_or_b64 exec, exec, s[44:45]
	s_and_saveexec_b64 s[44:45], s[14:15]
	s_cbranch_execnz .LBB32_56
.LBB32_40:                              ;   in Loop: Header=BB32_33 Depth=1
	s_or_b64 exec, exec, s[44:45]
	s_and_saveexec_b64 s[44:45], s[16:17]
	s_cbranch_execnz .LBB32_57
.LBB32_41:                              ;   in Loop: Header=BB32_33 Depth=1
	s_or_b64 exec, exec, s[44:45]
	s_and_saveexec_b64 s[44:45], s[18:19]
	s_cbranch_execnz .LBB32_58
.LBB32_42:                              ;   in Loop: Header=BB32_33 Depth=1
	s_or_b64 exec, exec, s[44:45]
	s_and_saveexec_b64 s[44:45], s[20:21]
	s_cbranch_execnz .LBB32_59
.LBB32_43:                              ;   in Loop: Header=BB32_33 Depth=1
	s_or_b64 exec, exec, s[44:45]
	s_and_saveexec_b64 s[44:45], s[22:23]
	s_cbranch_execnz .LBB32_60
.LBB32_44:                              ;   in Loop: Header=BB32_33 Depth=1
	s_or_b64 exec, exec, s[44:45]
	s_and_saveexec_b64 s[44:45], s[24:25]
	s_cbranch_execnz .LBB32_61
.LBB32_45:                              ;   in Loop: Header=BB32_33 Depth=1
	s_or_b64 exec, exec, s[44:45]
	s_and_saveexec_b64 s[44:45], s[26:27]
	s_cbranch_execnz .LBB32_62
.LBB32_46:                              ;   in Loop: Header=BB32_33 Depth=1
	s_or_b64 exec, exec, s[44:45]
	s_and_saveexec_b64 s[44:45], s[28:29]
	s_cbranch_execnz .LBB32_63
.LBB32_47:                              ;   in Loop: Header=BB32_33 Depth=1
	s_or_b64 exec, exec, s[44:45]
	s_and_saveexec_b64 s[44:45], s[30:31]
	s_cbranch_execnz .LBB32_64
.LBB32_48:                              ;   in Loop: Header=BB32_33 Depth=1
	s_or_b64 exec, exec, s[44:45]
	s_and_saveexec_b64 s[44:45], vcc
	s_cbranch_execnz .LBB32_65
.LBB32_49:                              ;   in Loop: Header=BB32_33 Depth=1
	s_or_b64 exec, exec, s[44:45]
	s_and_saveexec_b64 s[44:45], s[0:1]
	s_cbranch_execz .LBB32_32
	s_branch .LBB32_66
.LBB32_50:                              ;   in Loop: Header=BB32_33 Depth=1
	ds_read_b32 v10, v3 offset:4096
	s_waitcnt lgkmcnt(0)
	v_add_u32_e32 v9, v10, v9
	s_or_b64 exec, exec, s[44:45]
	s_and_saveexec_b64 s[44:45], s[4:5]
	s_cbranch_execz .LBB32_35
.LBB32_51:                              ;   in Loop: Header=BB32_33 Depth=1
	ds_read_b32 v10, v3 offset:4100
	s_waitcnt lgkmcnt(0)
	v_add_u32_e32 v9, v10, v9
	s_or_b64 exec, exec, s[44:45]
	s_and_saveexec_b64 s[44:45], s[6:7]
	s_cbranch_execz .LBB32_36
.LBB32_52:                              ;   in Loop: Header=BB32_33 Depth=1
	ds_read_b32 v10, v3 offset:4104
	s_waitcnt lgkmcnt(0)
	v_add_u32_e32 v9, v10, v9
	s_or_b64 exec, exec, s[44:45]
	s_and_saveexec_b64 s[44:45], s[8:9]
	s_cbranch_execz .LBB32_37
.LBB32_53:                              ;   in Loop: Header=BB32_33 Depth=1
	ds_read_b32 v10, v3 offset:4108
	s_waitcnt lgkmcnt(0)
	v_add_u32_e32 v9, v10, v9
	s_or_b64 exec, exec, s[44:45]
	s_and_saveexec_b64 s[44:45], s[10:11]
	s_cbranch_execz .LBB32_38
.LBB32_54:                              ;   in Loop: Header=BB32_33 Depth=1
	ds_read_b32 v10, v3 offset:4112
	s_waitcnt lgkmcnt(0)
	v_add_u32_e32 v9, v10, v9
	s_or_b64 exec, exec, s[44:45]
	s_and_saveexec_b64 s[44:45], s[12:13]
	s_cbranch_execz .LBB32_39
.LBB32_55:                              ;   in Loop: Header=BB32_33 Depth=1
	ds_read_b32 v10, v3 offset:4116
	s_waitcnt lgkmcnt(0)
	v_add_u32_e32 v9, v10, v9
	s_or_b64 exec, exec, s[44:45]
	s_and_saveexec_b64 s[44:45], s[14:15]
	s_cbranch_execz .LBB32_40
.LBB32_56:                              ;   in Loop: Header=BB32_33 Depth=1
	ds_read_b32 v10, v3 offset:4120
	s_waitcnt lgkmcnt(0)
	v_add_u32_e32 v9, v10, v9
	s_or_b64 exec, exec, s[44:45]
	s_and_saveexec_b64 s[44:45], s[16:17]
	s_cbranch_execz .LBB32_41
.LBB32_57:                              ;   in Loop: Header=BB32_33 Depth=1
	ds_read_b32 v10, v3 offset:4124
	s_waitcnt lgkmcnt(0)
	v_add_u32_e32 v9, v10, v9
	s_or_b64 exec, exec, s[44:45]
	s_and_saveexec_b64 s[44:45], s[18:19]
	s_cbranch_execz .LBB32_42
.LBB32_58:                              ;   in Loop: Header=BB32_33 Depth=1
	ds_read_b32 v10, v3 offset:4128
	s_waitcnt lgkmcnt(0)
	v_add_u32_e32 v9, v10, v9
	s_or_b64 exec, exec, s[44:45]
	s_and_saveexec_b64 s[44:45], s[20:21]
	s_cbranch_execz .LBB32_43
.LBB32_59:                              ;   in Loop: Header=BB32_33 Depth=1
	ds_read_b32 v10, v3 offset:4132
	s_waitcnt lgkmcnt(0)
	v_add_u32_e32 v9, v10, v9
	s_or_b64 exec, exec, s[44:45]
	s_and_saveexec_b64 s[44:45], s[22:23]
	s_cbranch_execz .LBB32_44
.LBB32_60:                              ;   in Loop: Header=BB32_33 Depth=1
	ds_read_b32 v10, v3 offset:4136
	s_waitcnt lgkmcnt(0)
	v_add_u32_e32 v9, v10, v9
	s_or_b64 exec, exec, s[44:45]
	s_and_saveexec_b64 s[44:45], s[24:25]
	s_cbranch_execz .LBB32_45
.LBB32_61:                              ;   in Loop: Header=BB32_33 Depth=1
	ds_read_b32 v10, v3 offset:4140
	s_waitcnt lgkmcnt(0)
	v_add_u32_e32 v9, v10, v9
	s_or_b64 exec, exec, s[44:45]
	s_and_saveexec_b64 s[44:45], s[26:27]
	s_cbranch_execz .LBB32_46
.LBB32_62:                              ;   in Loop: Header=BB32_33 Depth=1
	ds_read_b32 v10, v3 offset:4144
	s_waitcnt lgkmcnt(0)
	v_add_u32_e32 v9, v10, v9
	s_or_b64 exec, exec, s[44:45]
	s_and_saveexec_b64 s[44:45], s[28:29]
	s_cbranch_execz .LBB32_47
.LBB32_63:                              ;   in Loop: Header=BB32_33 Depth=1
	ds_read_b32 v10, v3 offset:4148
	s_waitcnt lgkmcnt(0)
	v_add_u32_e32 v9, v10, v9
	s_or_b64 exec, exec, s[44:45]
	s_and_saveexec_b64 s[44:45], s[30:31]
	s_cbranch_execz .LBB32_48
.LBB32_64:                              ;   in Loop: Header=BB32_33 Depth=1
	ds_read_b32 v10, v3 offset:4152
	s_waitcnt lgkmcnt(0)
	v_add_u32_e32 v9, v10, v9
	s_or_b64 exec, exec, s[44:45]
	s_and_saveexec_b64 s[44:45], vcc
	s_cbranch_execz .LBB32_49
.LBB32_65:                              ;   in Loop: Header=BB32_33 Depth=1
	v_lshlrev_b32_e32 v10, 2, v5
	v_add_u32_e32 v10, 0, v10
	v_lshlrev_b32_e32 v11, 2, v9
	v_add3_u32 v10, v10, v11, -4
	ds_write_b32 v10, v6
	s_or_b64 exec, exec, s[44:45]
	s_and_saveexec_b64 s[44:45], s[0:1]
	s_cbranch_execz .LBB32_32
.LBB32_66:                              ;   in Loop: Header=BB32_33 Depth=1
	ds_write_b32 v3, v9 offset:4156
	s_branch .LBB32_32
.LBB32_67:
	s_or_b64 exec, exec, s[40:41]
	s_ashr_i32 s35, s34, 31
	s_lshl_b64 s[0:1], s[34:35], 3
	s_add_u32 s4, s36, s0
	s_addc_u32 s5, s37, s1
	s_load_dwordx4 s[0:3], s[4:5], 0x0
	s_waitcnt lgkmcnt(0)
	s_sub_i32 s8, s2, s0
	v_cmp_gt_i32_e32 vcc, s8, v0
	s_and_saveexec_b64 s[4:5], vcc
	s_cbranch_execz .LBB32_77
; %bb.68:
	s_sub_u32 s4, s0, s42
	s_subb_u32 s5, s1, 0
	s_and_b32 s9, s8, 7
	s_sub_i32 s0, s0, s2
	s_cmp_lt_u32 s0, -7
	s_cselect_b64 s[0:1], -1, 0
	s_and_b32 s10, s8, -8
	s_cmp_lg_u32 s9, 0
	v_cndmask_b32_e64 v1, 0, 1, s[0:1]
	s_mov_b64 s[2:3], 0
	s_cselect_b64 s[6:7], -1, 0
	v_cmp_ne_u32_e64 s[0:1], 1, v1
	s_branch .LBB32_70
.LBB32_69:                              ;   in Loop: Header=BB32_70 Depth=1
	v_lshlrev_b64 v[1:2], 2, v[1:2]
	v_mov_b32_e32 v4, s39
	v_add_co_u32_e32 v1, vcc, s38, v1
	v_addc_co_u32_e32 v2, vcc, v4, v2, vcc
	v_add_u32_e32 v0, 0x200, v0
	v_cmp_le_i32_e32 vcc, s8, v0
	s_waitcnt lgkmcnt(0)
	v_add_u32_e32 v3, s42, v3
	s_or_b64 s[2:3], vcc, s[2:3]
	global_store_dword v[1:2], v3, off
	s_andn2_b64 exec, exec, s[2:3]
	s_cbranch_execz .LBB32_77
.LBB32_70:                              ; =>This Loop Header: Depth=1
                                        ;     Child Loop BB32_72 Depth 2
                                        ;     Child Loop BB32_76 Depth 2
	v_lshl_add_u32 v1, v0, 2, 0
	ds_read_b32 v3, v1
	v_mov_b32_e32 v1, s4
	s_and_b64 vcc, exec, s[0:1]
	v_mov_b32_e32 v2, s5
	s_mov_b32 s11, 0
	s_cbranch_vccnz .LBB32_74
; %bb.71:                               ;   in Loop: Header=BB32_70 Depth=1
	v_mov_b32_e32 v1, s4
	s_mov_b32 s12, 0
	v_mov_b32_e32 v2, s5
.LBB32_72:                              ;   Parent Loop BB32_70 Depth=1
                                        ; =>  This Inner Loop Header: Depth=2
	v_mov_b32_e32 v10, s12
	ds_read2_b32 v[4:5], v10 offset1:1
	ds_read2_b32 v[6:7], v10 offset0:2 offset1:3
	ds_read2_b32 v[8:9], v10 offset0:4 offset1:5
	;; [unrolled: 1-line block ×3, first 2 shown]
	s_add_i32 s11, s11, 8
	s_waitcnt lgkmcnt(3)
	v_cmp_gt_i32_e32 vcc, v3, v4
	v_cndmask_b32_e64 v4, 0, 1, vcc
	v_cmp_gt_i32_e32 vcc, v3, v5
	v_cndmask_b32_e64 v5, 0, 1, vcc
	s_waitcnt lgkmcnt(2)
	v_cmp_gt_i32_e32 vcc, v3, v6
	v_cndmask_b32_e64 v6, 0, 1, vcc
	v_cmp_gt_i32_e32 vcc, v3, v7
	v_cndmask_b32_e64 v7, 0, 1, vcc
	;; [unrolled: 5-line block ×4, first 2 shown]
	v_add_co_u32_e32 v1, vcc, v1, v4
	v_addc_co_u32_e32 v2, vcc, 0, v2, vcc
	v_add_co_u32_e32 v1, vcc, v1, v5
	v_addc_co_u32_e32 v2, vcc, 0, v2, vcc
	;; [unrolled: 2-line block ×7, first 2 shown]
	s_add_i32 s12, s12, 32
	v_add_co_u32_e32 v1, vcc, v1, v11
	s_cmp_eq_u32 s10, s11
	v_addc_co_u32_e32 v2, vcc, 0, v2, vcc
	s_cbranch_scc0 .LBB32_72
; %bb.73:                               ;   in Loop: Header=BB32_70 Depth=1
	s_mov_b32 s11, s10
.LBB32_74:                              ;   in Loop: Header=BB32_70 Depth=1
	s_andn2_b64 vcc, exec, s[6:7]
	s_cbranch_vccnz .LBB32_69
; %bb.75:                               ;   in Loop: Header=BB32_70 Depth=1
	s_lshl_b32 s11, s11, 2
	s_add_i32 s11, s11, 0
	s_mov_b32 s12, s9
.LBB32_76:                              ;   Parent Loop BB32_70 Depth=1
                                        ; =>  This Inner Loop Header: Depth=2
	v_mov_b32_e32 v4, s11
	ds_read_b32 v4, v4
	s_add_i32 s11, s11, 4
	s_add_i32 s12, s12, -1
	s_cmp_lg_u32 s12, 0
	s_waitcnt lgkmcnt(0)
	v_cmp_gt_i32_e32 vcc, v3, v4
	v_cndmask_b32_e64 v4, 0, 1, vcc
	v_add_co_u32_e32 v1, vcc, v1, v4
	v_addc_co_u32_e32 v2, vcc, 0, v2, vcc
	s_cbranch_scc1 .LBB32_76
	s_branch .LBB32_69
.LBB32_77:
	s_endpgm
	.section	.rodata,"a",@progbits
	.p2align	6, 0x0
	.amdhsa_kernel _ZN9rocsparseL35csrgemm_symbolic_fill_block_per_rowILj512ELj32ELj1024ELj137ELj32EliEEvT5_PKS1_S3_PKT4_S3_S6_S3_S6_S3_S6_PS1_21rocsparse_index_base_S8_S8_S8_bb
		.amdhsa_group_segment_fixed_size 0
		.amdhsa_private_segment_fixed_size 0
		.amdhsa_kernarg_size 108
		.amdhsa_user_sgpr_count 6
		.amdhsa_user_sgpr_private_segment_buffer 1
		.amdhsa_user_sgpr_dispatch_ptr 0
		.amdhsa_user_sgpr_queue_ptr 0
		.amdhsa_user_sgpr_kernarg_segment_ptr 1
		.amdhsa_user_sgpr_dispatch_id 0
		.amdhsa_user_sgpr_flat_scratch_init 0
		.amdhsa_user_sgpr_private_segment_size 0
		.amdhsa_uses_dynamic_stack 0
		.amdhsa_system_sgpr_private_segment_wavefront_offset 0
		.amdhsa_system_sgpr_workgroup_id_x 1
		.amdhsa_system_sgpr_workgroup_id_y 0
		.amdhsa_system_sgpr_workgroup_id_z 0
		.amdhsa_system_sgpr_workgroup_info 0
		.amdhsa_system_vgpr_workitem_id 0
		.amdhsa_next_free_vgpr 18
		.amdhsa_next_free_sgpr 46
		.amdhsa_reserve_vcc 1
		.amdhsa_reserve_flat_scratch 0
		.amdhsa_float_round_mode_32 0
		.amdhsa_float_round_mode_16_64 0
		.amdhsa_float_denorm_mode_32 3
		.amdhsa_float_denorm_mode_16_64 3
		.amdhsa_dx10_clamp 1
		.amdhsa_ieee_mode 1
		.amdhsa_fp16_overflow 0
		.amdhsa_exception_fp_ieee_invalid_op 0
		.amdhsa_exception_fp_denorm_src 0
		.amdhsa_exception_fp_ieee_div_zero 0
		.amdhsa_exception_fp_ieee_overflow 0
		.amdhsa_exception_fp_ieee_underflow 0
		.amdhsa_exception_fp_ieee_inexact 0
		.amdhsa_exception_int_div_zero 0
	.end_amdhsa_kernel
	.section	.text._ZN9rocsparseL35csrgemm_symbolic_fill_block_per_rowILj512ELj32ELj1024ELj137ELj32EliEEvT5_PKS1_S3_PKT4_S3_S6_S3_S6_S3_S6_PS1_21rocsparse_index_base_S8_S8_S8_bb,"axG",@progbits,_ZN9rocsparseL35csrgemm_symbolic_fill_block_per_rowILj512ELj32ELj1024ELj137ELj32EliEEvT5_PKS1_S3_PKT4_S3_S6_S3_S6_S3_S6_PS1_21rocsparse_index_base_S8_S8_S8_bb,comdat
.Lfunc_end32:
	.size	_ZN9rocsparseL35csrgemm_symbolic_fill_block_per_rowILj512ELj32ELj1024ELj137ELj32EliEEvT5_PKS1_S3_PKT4_S3_S6_S3_S6_S3_S6_PS1_21rocsparse_index_base_S8_S8_S8_bb, .Lfunc_end32-_ZN9rocsparseL35csrgemm_symbolic_fill_block_per_rowILj512ELj32ELj1024ELj137ELj32EliEEvT5_PKS1_S3_PKT4_S3_S6_S3_S6_S3_S6_PS1_21rocsparse_index_base_S8_S8_S8_bb
                                        ; -- End function
	.set _ZN9rocsparseL35csrgemm_symbolic_fill_block_per_rowILj512ELj32ELj1024ELj137ELj32EliEEvT5_PKS1_S3_PKT4_S3_S6_S3_S6_S3_S6_PS1_21rocsparse_index_base_S8_S8_S8_bb.num_vgpr, 18
	.set _ZN9rocsparseL35csrgemm_symbolic_fill_block_per_rowILj512ELj32ELj1024ELj137ELj32EliEEvT5_PKS1_S3_PKT4_S3_S6_S3_S6_S3_S6_PS1_21rocsparse_index_base_S8_S8_S8_bb.num_agpr, 0
	.set _ZN9rocsparseL35csrgemm_symbolic_fill_block_per_rowILj512ELj32ELj1024ELj137ELj32EliEEvT5_PKS1_S3_PKT4_S3_S6_S3_S6_S3_S6_PS1_21rocsparse_index_base_S8_S8_S8_bb.numbered_sgpr, 46
	.set _ZN9rocsparseL35csrgemm_symbolic_fill_block_per_rowILj512ELj32ELj1024ELj137ELj32EliEEvT5_PKS1_S3_PKT4_S3_S6_S3_S6_S3_S6_PS1_21rocsparse_index_base_S8_S8_S8_bb.num_named_barrier, 0
	.set _ZN9rocsparseL35csrgemm_symbolic_fill_block_per_rowILj512ELj32ELj1024ELj137ELj32EliEEvT5_PKS1_S3_PKT4_S3_S6_S3_S6_S3_S6_PS1_21rocsparse_index_base_S8_S8_S8_bb.private_seg_size, 0
	.set _ZN9rocsparseL35csrgemm_symbolic_fill_block_per_rowILj512ELj32ELj1024ELj137ELj32EliEEvT5_PKS1_S3_PKT4_S3_S6_S3_S6_S3_S6_PS1_21rocsparse_index_base_S8_S8_S8_bb.uses_vcc, 1
	.set _ZN9rocsparseL35csrgemm_symbolic_fill_block_per_rowILj512ELj32ELj1024ELj137ELj32EliEEvT5_PKS1_S3_PKT4_S3_S6_S3_S6_S3_S6_PS1_21rocsparse_index_base_S8_S8_S8_bb.uses_flat_scratch, 0
	.set _ZN9rocsparseL35csrgemm_symbolic_fill_block_per_rowILj512ELj32ELj1024ELj137ELj32EliEEvT5_PKS1_S3_PKT4_S3_S6_S3_S6_S3_S6_PS1_21rocsparse_index_base_S8_S8_S8_bb.has_dyn_sized_stack, 0
	.set _ZN9rocsparseL35csrgemm_symbolic_fill_block_per_rowILj512ELj32ELj1024ELj137ELj32EliEEvT5_PKS1_S3_PKT4_S3_S6_S3_S6_S3_S6_PS1_21rocsparse_index_base_S8_S8_S8_bb.has_recursion, 0
	.set _ZN9rocsparseL35csrgemm_symbolic_fill_block_per_rowILj512ELj32ELj1024ELj137ELj32EliEEvT5_PKS1_S3_PKT4_S3_S6_S3_S6_S3_S6_PS1_21rocsparse_index_base_S8_S8_S8_bb.has_indirect_call, 0
	.section	.AMDGPU.csdata,"",@progbits
; Kernel info:
; codeLenInByte = 2604
; TotalNumSgprs: 50
; NumVgprs: 18
; ScratchSize: 0
; MemoryBound: 0
; FloatMode: 240
; IeeeMode: 1
; LDSByteSize: 0 bytes/workgroup (compile time only)
; SGPRBlocks: 6
; VGPRBlocks: 4
; NumSGPRsForWavesPerEU: 50
; NumVGPRsForWavesPerEU: 18
; Occupancy: 10
; WaveLimiterHint : 1
; COMPUTE_PGM_RSRC2:SCRATCH_EN: 0
; COMPUTE_PGM_RSRC2:USER_SGPR: 6
; COMPUTE_PGM_RSRC2:TRAP_HANDLER: 0
; COMPUTE_PGM_RSRC2:TGID_X_EN: 1
; COMPUTE_PGM_RSRC2:TGID_Y_EN: 0
; COMPUTE_PGM_RSRC2:TGID_Z_EN: 0
; COMPUTE_PGM_RSRC2:TIDIG_COMP_CNT: 0
	.section	.text._ZN9rocsparseL35csrgemm_symbolic_fill_block_per_rowILj512ELj32ELj1024ELj137ELj64EliEEvT5_PKS1_S3_PKT4_S3_S6_S3_S6_S3_S6_PS1_21rocsparse_index_base_S8_S8_S8_bb,"axG",@progbits,_ZN9rocsparseL35csrgemm_symbolic_fill_block_per_rowILj512ELj32ELj1024ELj137ELj64EliEEvT5_PKS1_S3_PKT4_S3_S6_S3_S6_S3_S6_PS1_21rocsparse_index_base_S8_S8_S8_bb,comdat
	.globl	_ZN9rocsparseL35csrgemm_symbolic_fill_block_per_rowILj512ELj32ELj1024ELj137ELj64EliEEvT5_PKS1_S3_PKT4_S3_S6_S3_S6_S3_S6_PS1_21rocsparse_index_base_S8_S8_S8_bb ; -- Begin function _ZN9rocsparseL35csrgemm_symbolic_fill_block_per_rowILj512ELj32ELj1024ELj137ELj64EliEEvT5_PKS1_S3_PKT4_S3_S6_S3_S6_S3_S6_PS1_21rocsparse_index_base_S8_S8_S8_bb
	.p2align	8
	.type	_ZN9rocsparseL35csrgemm_symbolic_fill_block_per_rowILj512ELj32ELj1024ELj137ELj64EliEEvT5_PKS1_S3_PKT4_S3_S6_S3_S6_S3_S6_PS1_21rocsparse_index_base_S8_S8_S8_bb,@function
_ZN9rocsparseL35csrgemm_symbolic_fill_block_per_rowILj512ELj32ELj1024ELj137ELj64EliEEvT5_PKS1_S3_PKT4_S3_S6_S3_S6_S3_S6_PS1_21rocsparse_index_base_S8_S8_S8_bb: ; @_ZN9rocsparseL35csrgemm_symbolic_fill_block_per_rowILj512ELj32ELj1024ELj137ELj64EliEEvT5_PKS1_S3_PKT4_S3_S6_S3_S6_S3_S6_PS1_21rocsparse_index_base_S8_S8_S8_bb
; %bb.0:
	s_load_dwordx4 s[24:27], s[4:5], 0x48
	s_load_dwordx8 s[8:15], s[4:5], 0x28
	s_load_dword s33, s[4:5], 0x0
	s_load_dwordx8 s[16:23], s[4:5], 0x8
	v_or_b32_e32 v7, 0xfffffe00, v0
	v_lshl_add_u32 v8, v0, 2, 0
	s_mov_b64 s[0:1], 0
	s_waitcnt lgkmcnt(0)
	v_mov_b32_e32 v1, s33
	v_mov_b32_e32 v2, v8
	;; [unrolled: 1-line block ×3, first 2 shown]
.LBB33_1:                               ; =>This Inner Loop Header: Depth=1
	v_add_co_u32_e32 v3, vcc, 0x200, v3
	s_xor_b64 s[2:3], vcc, -1
	s_and_b64 s[2:3], exec, s[2:3]
	ds_write_b32 v2, v1
	s_or_b64 s[0:1], s[2:3], s[0:1]
	v_add_u32_e32 v2, 0x800, v2
	s_andn2_b64 exec, exec, s[0:1]
	s_cbranch_execnz .LBB33_1
; %bb.2:
	s_or_b64 exec, exec, s[0:1]
	s_load_dword s42, s[4:5], 0x68
	s_waitcnt lgkmcnt(0)
	s_barrier
	s_load_dword s2, s[16:17], 0x0
	s_load_dwordx4 s[28:31], s[4:5], 0x58
	s_bitcmp1_b32 s42, 0
	s_cselect_b64 s[0:1], -1, 0
	s_mov_b32 s3, 0
	s_waitcnt lgkmcnt(0)
	s_add_i32 s2, s2, s6
	s_lshl_b64 s[2:3], s[2:3], 2
	s_add_u32 s2, s18, s2
	s_addc_u32 s3, s19, s3
	s_load_dword s16, s[2:3], 0x0
	s_and_b64 vcc, exec, s[0:1]
	s_cbranch_vccz .LBB33_18
; %bb.3:
	s_waitcnt lgkmcnt(0)
	s_ashr_i32 s17, s16, 31
	s_lshl_b64 s[0:1], s[16:17], 3
	s_add_u32 s0, s20, s0
	s_addc_u32 s1, s21, s1
	s_load_dwordx4 s[4:7], s[0:1], 0x0
	v_lshrrev_b32_e32 v1, 5, v0
	v_subrev_co_u32_e32 v1, vcc, s28, v1
	v_subb_co_u32_e64 v2, s[2:3], 0, 0, vcc
	s_waitcnt lgkmcnt(0)
	s_sub_u32 s0, s6, s28
	v_mov_b32_e32 v3, s5
	v_add_co_u32_e32 v1, vcc, s4, v1
	s_subb_u32 s1, s7, 0
	v_addc_co_u32_e32 v2, vcc, v3, v2, vcc
	v_cmp_gt_i64_e32 vcc, s[0:1], v[1:2]
	s_and_saveexec_b64 s[2:3], vcc
	s_cbranch_execz .LBB33_17
; %bb.4:
	v_and_b32_e32 v3, 31, v0
	v_subrev_co_u32_e32 v9, vcc, s29, v3
	v_subb_co_u32_e64 v10, s[4:5], 0, 0, vcc
	s_mov_b32 s17, s29
	s_mov_b64 s[4:5], 0
	v_mov_b32_e32 v11, s23
	v_mov_b32_e32 v12, s9
	s_movk_i32 s9, 0x89
	s_branch .LBB33_6
.LBB33_5:                               ;   in Loop: Header=BB33_6 Depth=1
	s_or_b64 exec, exec, s[6:7]
	v_add_co_u32_e32 v1, vcc, 16, v1
	v_addc_co_u32_e32 v2, vcc, 0, v2, vcc
	v_cmp_le_i64_e32 vcc, s[0:1], v[1:2]
	s_or_b64 s[4:5], vcc, s[4:5]
	s_andn2_b64 exec, exec, s[4:5]
	s_cbranch_execz .LBB33_17
.LBB33_6:                               ; =>This Loop Header: Depth=1
                                        ;     Child Loop BB33_9 Depth 2
                                        ;       Child Loop BB33_12 Depth 3
	v_lshlrev_b64 v[3:4], 2, v[1:2]
	v_add_co_u32_e32 v3, vcc, s22, v3
	v_addc_co_u32_e32 v4, vcc, v11, v4, vcc
	global_load_dword v3, v[3:4], off
	s_waitcnt vmcnt(0)
	v_subrev_u32_e32 v3, s28, v3
	v_ashrrev_i32_e32 v4, 31, v3
	v_lshlrev_b64 v[3:4], 3, v[3:4]
	v_add_co_u32_e32 v3, vcc, s8, v3
	v_addc_co_u32_e32 v4, vcc, v12, v4, vcc
	global_load_dwordx4 v[13:16], v[3:4], off
	s_waitcnt vmcnt(0)
	v_subrev_co_u32_e32 v3, vcc, s17, v15
	v_subbrev_co_u32_e32 v4, vcc, 0, v16, vcc
	v_add_co_u32_e32 v5, vcc, v13, v9
	v_addc_co_u32_e32 v6, vcc, v14, v10, vcc
	v_cmp_lt_i64_e32 vcc, v[5:6], v[3:4]
	s_and_saveexec_b64 s[6:7], vcc
	s_cbranch_execz .LBB33_5
; %bb.7:                                ;   in Loop: Header=BB33_6 Depth=1
	s_mov_b64 s[18:19], 0
	s_branch .LBB33_9
.LBB33_8:                               ;   in Loop: Header=BB33_9 Depth=2
	s_or_b64 exec, exec, s[20:21]
	v_add_co_u32_e32 v5, vcc, 32, v5
	v_addc_co_u32_e32 v6, vcc, 0, v6, vcc
	v_cmp_ge_i64_e32 vcc, v[5:6], v[3:4]
	s_or_b64 s[18:19], vcc, s[18:19]
	s_andn2_b64 exec, exec, s[18:19]
	s_cbranch_execz .LBB33_5
.LBB33_9:                               ;   Parent Loop BB33_6 Depth=1
                                        ; =>  This Loop Header: Depth=2
                                        ;       Child Loop BB33_12 Depth 3
	v_lshlrev_b64 v[13:14], 2, v[5:6]
	v_mov_b32_e32 v15, s11
	v_add_co_u32_e32 v13, vcc, s10, v13
	v_addc_co_u32_e32 v14, vcc, v15, v14, vcc
	global_load_dword v13, v[13:14], off
	s_mov_b64 s[20:21], 0
                                        ; implicit-def: $sgpr34_sgpr35
	s_waitcnt vmcnt(0)
	v_subrev_u32_e32 v13, s29, v13
	v_mul_lo_u32 v14, v13, s9
	v_and_b32_e32 v14, 0x3ff, v14
	s_branch .LBB33_12
.LBB33_10:                              ;   in Loop: Header=BB33_12 Depth=3
	s_or_b64 exec, exec, s[38:39]
	s_andn2_b64 s[34:35], s[34:35], exec
	s_and_b64 s[38:39], s[40:41], exec
	s_or_b64 s[34:35], s[34:35], s[38:39]
.LBB33_11:                              ;   in Loop: Header=BB33_12 Depth=3
	s_or_b64 exec, exec, s[36:37]
	s_xor_b64 s[36:37], s[34:35], -1
	s_and_b64 s[36:37], exec, s[36:37]
	s_or_b64 s[20:21], s[36:37], s[20:21]
	s_andn2_b64 exec, exec, s[20:21]
	s_cbranch_execz .LBB33_8
.LBB33_12:                              ;   Parent Loop BB33_6 Depth=1
                                        ;     Parent Loop BB33_9 Depth=2
                                        ; =>    This Inner Loop Header: Depth=3
	v_lshl_add_u32 v15, v14, 2, 0
	ds_read_b32 v16, v15
	s_andn2_b64 s[34:35], s[34:35], exec
	s_waitcnt lgkmcnt(0)
	v_cmp_ne_u32_e32 vcc, v16, v13
	s_and_saveexec_b64 s[36:37], vcc
	s_cbranch_execz .LBB33_11
; %bb.13:                               ;   in Loop: Header=BB33_12 Depth=3
	v_cmp_ne_u32_e32 vcc, s33, v16
	s_and_saveexec_b64 s[38:39], vcc
	s_xor_b64 s[38:39], exec, s[38:39]
; %bb.14:                               ;   in Loop: Header=BB33_12 Depth=3
	v_add_u32_e32 v14, 1, v14
	v_and_b32_e32 v14, 0x3ff, v14
                                        ; implicit-def: $vgpr15
; %bb.15:                               ;   in Loop: Header=BB33_12 Depth=3
	s_or_saveexec_b64 s[38:39], s[38:39]
	s_mov_b64 s[40:41], -1
	s_xor_b64 exec, exec, s[38:39]
	s_cbranch_execz .LBB33_10
; %bb.16:                               ;   in Loop: Header=BB33_12 Depth=3
	v_mov_b32_e32 v16, s33
	ds_cmpst_rtn_b32 v15, v15, v16, v13
	s_waitcnt lgkmcnt(0)
	v_cmp_ne_u32_e32 vcc, s33, v15
	s_orn2_b64 s[40:41], vcc, exec
	s_branch .LBB33_10
.LBB33_17:
	s_or_b64 exec, exec, s[2:3]
.LBB33_18:
	s_bfe_u32 s0, s42, 0x10008
	s_cmp_eq_u32 s0, 0
	s_cbranch_scc1 .LBB33_31
; %bb.19:
	s_waitcnt lgkmcnt(0)
	s_ashr_i32 s17, s16, 31
	s_lshl_b64 s[0:1], s[16:17], 3
	s_add_u32 s0, s12, s0
	s_addc_u32 s1, s13, s1
	s_load_dwordx4 s[4:7], s[0:1], 0x0
	v_subrev_co_u32_e32 v1, vcc, s31, v0
	v_subb_co_u32_e64 v2, s[0:1], 0, 0, vcc
	s_waitcnt lgkmcnt(0)
	s_sub_u32 s0, s6, s31
	v_mov_b32_e32 v3, s5
	v_add_co_u32_e32 v1, vcc, s4, v1
	s_subb_u32 s1, s7, 0
	v_addc_co_u32_e32 v2, vcc, v3, v2, vcc
	v_cmp_gt_i64_e32 vcc, s[0:1], v[1:2]
	s_and_saveexec_b64 s[2:3], vcc
	s_cbranch_execz .LBB33_30
; %bb.20:
	s_mov_b64 s[4:5], 0
	v_mov_b32_e32 v3, s15
	s_movk_i32 s15, 0x89
	s_branch .LBB33_22
.LBB33_21:                              ;   in Loop: Header=BB33_22 Depth=1
	s_or_b64 exec, exec, s[6:7]
	v_add_co_u32_e32 v1, vcc, 0x200, v1
	v_addc_co_u32_e32 v2, vcc, 0, v2, vcc
	v_cmp_le_i64_e32 vcc, s[0:1], v[1:2]
	s_or_b64 s[4:5], vcc, s[4:5]
	s_andn2_b64 exec, exec, s[4:5]
	s_cbranch_execz .LBB33_30
.LBB33_22:                              ; =>This Loop Header: Depth=1
                                        ;     Child Loop BB33_25 Depth 2
	v_lshlrev_b64 v[4:5], 2, v[1:2]
	s_mov_b64 s[6:7], 0
	v_add_co_u32_e32 v4, vcc, s14, v4
	v_addc_co_u32_e32 v5, vcc, v3, v5, vcc
	global_load_dword v4, v[4:5], off
                                        ; implicit-def: $sgpr8_sgpr9
	s_waitcnt vmcnt(0)
	v_subrev_u32_e32 v4, s31, v4
	v_mul_lo_u32 v5, v4, s15
	v_and_b32_e32 v5, 0x3ff, v5
	s_branch .LBB33_25
.LBB33_23:                              ;   in Loop: Header=BB33_25 Depth=2
	s_or_b64 exec, exec, s[12:13]
	s_andn2_b64 s[8:9], s[8:9], exec
	s_and_b64 s[12:13], s[18:19], exec
	s_or_b64 s[8:9], s[8:9], s[12:13]
.LBB33_24:                              ;   in Loop: Header=BB33_25 Depth=2
	s_or_b64 exec, exec, s[10:11]
	s_xor_b64 s[10:11], s[8:9], -1
	s_and_b64 s[10:11], exec, s[10:11]
	s_or_b64 s[6:7], s[10:11], s[6:7]
	s_andn2_b64 exec, exec, s[6:7]
	s_cbranch_execz .LBB33_21
.LBB33_25:                              ;   Parent Loop BB33_22 Depth=1
                                        ; =>  This Inner Loop Header: Depth=2
	v_lshl_add_u32 v6, v5, 2, 0
	ds_read_b32 v9, v6
	s_andn2_b64 s[8:9], s[8:9], exec
	s_waitcnt lgkmcnt(0)
	v_cmp_ne_u32_e32 vcc, v9, v4
	s_and_saveexec_b64 s[10:11], vcc
	s_cbranch_execz .LBB33_24
; %bb.26:                               ;   in Loop: Header=BB33_25 Depth=2
	v_cmp_ne_u32_e32 vcc, s33, v9
	s_and_saveexec_b64 s[12:13], vcc
	s_xor_b64 s[12:13], exec, s[12:13]
; %bb.27:                               ;   in Loop: Header=BB33_25 Depth=2
	v_add_u32_e32 v5, 1, v5
	v_and_b32_e32 v5, 0x3ff, v5
                                        ; implicit-def: $vgpr6
; %bb.28:                               ;   in Loop: Header=BB33_25 Depth=2
	s_or_saveexec_b64 s[12:13], s[12:13]
	s_mov_b64 s[18:19], -1
	s_xor_b64 exec, exec, s[12:13]
	s_cbranch_execz .LBB33_23
; %bb.29:                               ;   in Loop: Header=BB33_25 Depth=2
	v_mov_b32_e32 v9, s33
	ds_cmpst_rtn_b32 v6, v6, v9, v4
	s_waitcnt lgkmcnt(0)
	v_cmp_ne_u32_e32 vcc, s33, v6
	s_orn2_b64 s[18:19], vcc, exec
	s_branch .LBB33_23
.LBB33_30:
	s_or_b64 exec, exec, s[2:3]
.LBB33_31:
	v_mbcnt_lo_u32_b32 v1, -1, 0
	v_mbcnt_hi_u32_b32 v1, -1, v1
	v_sub_u32_e32 v1, 63, v1
	v_lshrrev_b32_e32 v4, 4, v0
	v_lshrrev_b64 v[1:2], v1, -1
	v_and_b32_e32 v4, 28, v4
	s_movk_i32 s0, 0x1ff
	s_movk_i32 s4, 0x7f
	;; [unrolled: 1-line block ×7, first 2 shown]
	v_mov_b32_e32 v3, 0
	v_add_u32_e32 v4, 0, v4
	v_cmp_eq_u32_e64 s[0:1], s0, v0
	v_cmp_lt_u32_e64 s[2:3], 63, v0
	v_cmp_lt_u32_e64 s[4:5], s4, v0
	;; [unrolled: 1-line block ×7, first 2 shown]
	s_mov_b64 s[18:19], 0
	v_mov_b32_e32 v5, 0
	s_waitcnt lgkmcnt(0)
	s_barrier
	s_branch .LBB33_33
.LBB33_32:                              ;   in Loop: Header=BB33_33 Depth=1
	s_or_b64 exec, exec, s[20:21]
	s_waitcnt lgkmcnt(0)
	s_barrier
	ds_read_b32 v6, v3 offset:4124
	v_add_co_u32_e32 v7, vcc, 0x200, v7
	s_xor_b64 s[20:21], vcc, -1
	s_and_b64 s[20:21], exec, s[20:21]
	s_waitcnt lgkmcnt(0)
	v_add_u32_e32 v5, v6, v5
	s_or_b64 s[18:19], s[20:21], s[18:19]
	v_add_u32_e32 v8, 0x800, v8
	s_andn2_b64 exec, exec, s[18:19]
	s_cbranch_execz .LBB33_51
.LBB33_33:                              ; =>This Inner Loop Header: Depth=1
	ds_read_b32 v6, v8
	s_waitcnt lgkmcnt(0)
	s_barrier
	v_cmp_gt_i32_e32 vcc, s33, v6
	v_and_b32_e32 v10, vcc_lo, v1
	s_bcnt1_i32_b64 s17, vcc
	v_and_b32_e32 v9, vcc_hi, v2
	v_bcnt_u32_b32 v10, v10, 0
	v_bcnt_u32_b32 v9, v9, v10
	v_mov_b32_e32 v10, s17
	ds_write_b32 v4, v10 offset:4096
	s_waitcnt lgkmcnt(0)
	s_barrier
	s_and_saveexec_b64 s[20:21], s[2:3]
	s_cbranch_execnz .LBB33_42
; %bb.34:                               ;   in Loop: Header=BB33_33 Depth=1
	s_or_b64 exec, exec, s[20:21]
	s_and_saveexec_b64 s[20:21], s[4:5]
	s_cbranch_execnz .LBB33_43
.LBB33_35:                              ;   in Loop: Header=BB33_33 Depth=1
	s_or_b64 exec, exec, s[20:21]
	s_and_saveexec_b64 s[20:21], s[6:7]
	s_cbranch_execnz .LBB33_44
.LBB33_36:                              ;   in Loop: Header=BB33_33 Depth=1
	s_or_b64 exec, exec, s[20:21]
	s_and_saveexec_b64 s[20:21], s[8:9]
	s_cbranch_execnz .LBB33_45
.LBB33_37:                              ;   in Loop: Header=BB33_33 Depth=1
	s_or_b64 exec, exec, s[20:21]
	s_and_saveexec_b64 s[20:21], s[10:11]
	s_cbranch_execnz .LBB33_46
.LBB33_38:                              ;   in Loop: Header=BB33_33 Depth=1
	s_or_b64 exec, exec, s[20:21]
	s_and_saveexec_b64 s[20:21], s[12:13]
	s_cbranch_execnz .LBB33_47
.LBB33_39:                              ;   in Loop: Header=BB33_33 Depth=1
	s_or_b64 exec, exec, s[20:21]
	s_and_saveexec_b64 s[20:21], s[14:15]
	s_cbranch_execnz .LBB33_48
.LBB33_40:                              ;   in Loop: Header=BB33_33 Depth=1
	s_or_b64 exec, exec, s[20:21]
	s_and_saveexec_b64 s[20:21], vcc
	s_cbranch_execnz .LBB33_49
.LBB33_41:                              ;   in Loop: Header=BB33_33 Depth=1
	s_or_b64 exec, exec, s[20:21]
	s_and_saveexec_b64 s[20:21], s[0:1]
	s_cbranch_execz .LBB33_32
	s_branch .LBB33_50
.LBB33_42:                              ;   in Loop: Header=BB33_33 Depth=1
	ds_read_b32 v10, v3 offset:4096
	s_waitcnt lgkmcnt(0)
	v_add_u32_e32 v9, v10, v9
	s_or_b64 exec, exec, s[20:21]
	s_and_saveexec_b64 s[20:21], s[4:5]
	s_cbranch_execz .LBB33_35
.LBB33_43:                              ;   in Loop: Header=BB33_33 Depth=1
	ds_read_b32 v10, v3 offset:4100
	s_waitcnt lgkmcnt(0)
	v_add_u32_e32 v9, v10, v9
	s_or_b64 exec, exec, s[20:21]
	s_and_saveexec_b64 s[20:21], s[6:7]
	s_cbranch_execz .LBB33_36
.LBB33_44:                              ;   in Loop: Header=BB33_33 Depth=1
	ds_read_b32 v10, v3 offset:4104
	s_waitcnt lgkmcnt(0)
	v_add_u32_e32 v9, v10, v9
	s_or_b64 exec, exec, s[20:21]
	s_and_saveexec_b64 s[20:21], s[8:9]
	s_cbranch_execz .LBB33_37
.LBB33_45:                              ;   in Loop: Header=BB33_33 Depth=1
	ds_read_b32 v10, v3 offset:4108
	s_waitcnt lgkmcnt(0)
	v_add_u32_e32 v9, v10, v9
	s_or_b64 exec, exec, s[20:21]
	s_and_saveexec_b64 s[20:21], s[10:11]
	s_cbranch_execz .LBB33_38
.LBB33_46:                              ;   in Loop: Header=BB33_33 Depth=1
	ds_read_b32 v10, v3 offset:4112
	s_waitcnt lgkmcnt(0)
	v_add_u32_e32 v9, v10, v9
	s_or_b64 exec, exec, s[20:21]
	s_and_saveexec_b64 s[20:21], s[12:13]
	s_cbranch_execz .LBB33_39
.LBB33_47:                              ;   in Loop: Header=BB33_33 Depth=1
	ds_read_b32 v10, v3 offset:4116
	s_waitcnt lgkmcnt(0)
	v_add_u32_e32 v9, v10, v9
	s_or_b64 exec, exec, s[20:21]
	s_and_saveexec_b64 s[20:21], s[14:15]
	s_cbranch_execz .LBB33_40
.LBB33_48:                              ;   in Loop: Header=BB33_33 Depth=1
	ds_read_b32 v10, v3 offset:4120
	s_waitcnt lgkmcnt(0)
	v_add_u32_e32 v9, v10, v9
	s_or_b64 exec, exec, s[20:21]
	s_and_saveexec_b64 s[20:21], vcc
	s_cbranch_execz .LBB33_41
.LBB33_49:                              ;   in Loop: Header=BB33_33 Depth=1
	v_lshlrev_b32_e32 v10, 2, v5
	v_add_u32_e32 v10, 0, v10
	v_lshlrev_b32_e32 v11, 2, v9
	v_add3_u32 v10, v10, v11, -4
	ds_write_b32 v10, v6
	s_or_b64 exec, exec, s[20:21]
	s_and_saveexec_b64 s[20:21], s[0:1]
	s_cbranch_execz .LBB33_32
.LBB33_50:                              ;   in Loop: Header=BB33_33 Depth=1
	ds_write_b32 v3, v9 offset:4124
	s_branch .LBB33_32
.LBB33_51:
	s_or_b64 exec, exec, s[18:19]
	s_ashr_i32 s17, s16, 31
	s_lshl_b64 s[0:1], s[16:17], 3
	s_add_u32 s4, s24, s0
	s_addc_u32 s5, s25, s1
	s_load_dwordx4 s[0:3], s[4:5], 0x0
	s_waitcnt lgkmcnt(0)
	s_sub_i32 s8, s2, s0
	v_cmp_gt_i32_e32 vcc, s8, v0
	s_and_saveexec_b64 s[4:5], vcc
	s_cbranch_execz .LBB33_61
; %bb.52:
	s_sub_u32 s4, s0, s30
	s_subb_u32 s5, s1, 0
	s_and_b32 s9, s8, 7
	s_sub_i32 s0, s0, s2
	s_cmp_lt_u32 s0, -7
	s_cselect_b64 s[0:1], -1, 0
	s_and_b32 s10, s8, -8
	s_cmp_lg_u32 s9, 0
	v_cndmask_b32_e64 v1, 0, 1, s[0:1]
	s_mov_b64 s[2:3], 0
	s_cselect_b64 s[6:7], -1, 0
	v_cmp_ne_u32_e64 s[0:1], 1, v1
	s_branch .LBB33_54
.LBB33_53:                              ;   in Loop: Header=BB33_54 Depth=1
	v_lshlrev_b64 v[1:2], 2, v[1:2]
	v_mov_b32_e32 v4, s27
	v_add_co_u32_e32 v1, vcc, s26, v1
	v_addc_co_u32_e32 v2, vcc, v4, v2, vcc
	v_add_u32_e32 v0, 0x200, v0
	v_cmp_le_i32_e32 vcc, s8, v0
	s_waitcnt lgkmcnt(0)
	v_add_u32_e32 v3, s30, v3
	s_or_b64 s[2:3], vcc, s[2:3]
	global_store_dword v[1:2], v3, off
	s_andn2_b64 exec, exec, s[2:3]
	s_cbranch_execz .LBB33_61
.LBB33_54:                              ; =>This Loop Header: Depth=1
                                        ;     Child Loop BB33_56 Depth 2
                                        ;     Child Loop BB33_60 Depth 2
	v_lshl_add_u32 v1, v0, 2, 0
	ds_read_b32 v3, v1
	v_mov_b32_e32 v1, s4
	s_and_b64 vcc, exec, s[0:1]
	v_mov_b32_e32 v2, s5
	s_mov_b32 s11, 0
	s_cbranch_vccnz .LBB33_58
; %bb.55:                               ;   in Loop: Header=BB33_54 Depth=1
	v_mov_b32_e32 v1, s4
	s_mov_b32 s12, 0
	v_mov_b32_e32 v2, s5
.LBB33_56:                              ;   Parent Loop BB33_54 Depth=1
                                        ; =>  This Inner Loop Header: Depth=2
	v_mov_b32_e32 v10, s12
	ds_read2_b32 v[4:5], v10 offset1:1
	ds_read2_b32 v[6:7], v10 offset0:2 offset1:3
	ds_read2_b32 v[8:9], v10 offset0:4 offset1:5
	;; [unrolled: 1-line block ×3, first 2 shown]
	s_add_i32 s11, s11, 8
	s_waitcnt lgkmcnt(3)
	v_cmp_gt_i32_e32 vcc, v3, v4
	v_cndmask_b32_e64 v4, 0, 1, vcc
	v_cmp_gt_i32_e32 vcc, v3, v5
	v_cndmask_b32_e64 v5, 0, 1, vcc
	s_waitcnt lgkmcnt(2)
	v_cmp_gt_i32_e32 vcc, v3, v6
	v_cndmask_b32_e64 v6, 0, 1, vcc
	v_cmp_gt_i32_e32 vcc, v3, v7
	v_cndmask_b32_e64 v7, 0, 1, vcc
	;; [unrolled: 5-line block ×4, first 2 shown]
	v_add_co_u32_e32 v1, vcc, v1, v4
	v_addc_co_u32_e32 v2, vcc, 0, v2, vcc
	v_add_co_u32_e32 v1, vcc, v1, v5
	v_addc_co_u32_e32 v2, vcc, 0, v2, vcc
	;; [unrolled: 2-line block ×7, first 2 shown]
	s_add_i32 s12, s12, 32
	v_add_co_u32_e32 v1, vcc, v1, v11
	s_cmp_eq_u32 s10, s11
	v_addc_co_u32_e32 v2, vcc, 0, v2, vcc
	s_cbranch_scc0 .LBB33_56
; %bb.57:                               ;   in Loop: Header=BB33_54 Depth=1
	s_mov_b32 s11, s10
.LBB33_58:                              ;   in Loop: Header=BB33_54 Depth=1
	s_andn2_b64 vcc, exec, s[6:7]
	s_cbranch_vccnz .LBB33_53
; %bb.59:                               ;   in Loop: Header=BB33_54 Depth=1
	s_lshl_b32 s11, s11, 2
	s_add_i32 s11, s11, 0
	s_mov_b32 s12, s9
.LBB33_60:                              ;   Parent Loop BB33_54 Depth=1
                                        ; =>  This Inner Loop Header: Depth=2
	v_mov_b32_e32 v4, s11
	ds_read_b32 v4, v4
	s_add_i32 s11, s11, 4
	s_add_i32 s12, s12, -1
	s_cmp_lg_u32 s12, 0
	s_waitcnt lgkmcnt(0)
	v_cmp_gt_i32_e32 vcc, v3, v4
	v_cndmask_b32_e64 v4, 0, 1, vcc
	v_add_co_u32_e32 v1, vcc, v1, v4
	v_addc_co_u32_e32 v2, vcc, 0, v2, vcc
	s_cbranch_scc1 .LBB33_60
	s_branch .LBB33_53
.LBB33_61:
	s_endpgm
	.section	.rodata,"a",@progbits
	.p2align	6, 0x0
	.amdhsa_kernel _ZN9rocsparseL35csrgemm_symbolic_fill_block_per_rowILj512ELj32ELj1024ELj137ELj64EliEEvT5_PKS1_S3_PKT4_S3_S6_S3_S6_S3_S6_PS1_21rocsparse_index_base_S8_S8_S8_bb
		.amdhsa_group_segment_fixed_size 0
		.amdhsa_private_segment_fixed_size 0
		.amdhsa_kernarg_size 108
		.amdhsa_user_sgpr_count 6
		.amdhsa_user_sgpr_private_segment_buffer 1
		.amdhsa_user_sgpr_dispatch_ptr 0
		.amdhsa_user_sgpr_queue_ptr 0
		.amdhsa_user_sgpr_kernarg_segment_ptr 1
		.amdhsa_user_sgpr_dispatch_id 0
		.amdhsa_user_sgpr_flat_scratch_init 0
		.amdhsa_user_sgpr_private_segment_size 0
		.amdhsa_uses_dynamic_stack 0
		.amdhsa_system_sgpr_private_segment_wavefront_offset 0
		.amdhsa_system_sgpr_workgroup_id_x 1
		.amdhsa_system_sgpr_workgroup_id_y 0
		.amdhsa_system_sgpr_workgroup_id_z 0
		.amdhsa_system_sgpr_workgroup_info 0
		.amdhsa_system_vgpr_workitem_id 0
		.amdhsa_next_free_vgpr 17
		.amdhsa_next_free_sgpr 43
		.amdhsa_reserve_vcc 1
		.amdhsa_reserve_flat_scratch 0
		.amdhsa_float_round_mode_32 0
		.amdhsa_float_round_mode_16_64 0
		.amdhsa_float_denorm_mode_32 3
		.amdhsa_float_denorm_mode_16_64 3
		.amdhsa_dx10_clamp 1
		.amdhsa_ieee_mode 1
		.amdhsa_fp16_overflow 0
		.amdhsa_exception_fp_ieee_invalid_op 0
		.amdhsa_exception_fp_denorm_src 0
		.amdhsa_exception_fp_ieee_div_zero 0
		.amdhsa_exception_fp_ieee_overflow 0
		.amdhsa_exception_fp_ieee_underflow 0
		.amdhsa_exception_fp_ieee_inexact 0
		.amdhsa_exception_int_div_zero 0
	.end_amdhsa_kernel
	.section	.text._ZN9rocsparseL35csrgemm_symbolic_fill_block_per_rowILj512ELj32ELj1024ELj137ELj64EliEEvT5_PKS1_S3_PKT4_S3_S6_S3_S6_S3_S6_PS1_21rocsparse_index_base_S8_S8_S8_bb,"axG",@progbits,_ZN9rocsparseL35csrgemm_symbolic_fill_block_per_rowILj512ELj32ELj1024ELj137ELj64EliEEvT5_PKS1_S3_PKT4_S3_S6_S3_S6_S3_S6_PS1_21rocsparse_index_base_S8_S8_S8_bb,comdat
.Lfunc_end33:
	.size	_ZN9rocsparseL35csrgemm_symbolic_fill_block_per_rowILj512ELj32ELj1024ELj137ELj64EliEEvT5_PKS1_S3_PKT4_S3_S6_S3_S6_S3_S6_PS1_21rocsparse_index_base_S8_S8_S8_bb, .Lfunc_end33-_ZN9rocsparseL35csrgemm_symbolic_fill_block_per_rowILj512ELj32ELj1024ELj137ELj64EliEEvT5_PKS1_S3_PKT4_S3_S6_S3_S6_S3_S6_PS1_21rocsparse_index_base_S8_S8_S8_bb
                                        ; -- End function
	.set _ZN9rocsparseL35csrgemm_symbolic_fill_block_per_rowILj512ELj32ELj1024ELj137ELj64EliEEvT5_PKS1_S3_PKT4_S3_S6_S3_S6_S3_S6_PS1_21rocsparse_index_base_S8_S8_S8_bb.num_vgpr, 17
	.set _ZN9rocsparseL35csrgemm_symbolic_fill_block_per_rowILj512ELj32ELj1024ELj137ELj64EliEEvT5_PKS1_S3_PKT4_S3_S6_S3_S6_S3_S6_PS1_21rocsparse_index_base_S8_S8_S8_bb.num_agpr, 0
	.set _ZN9rocsparseL35csrgemm_symbolic_fill_block_per_rowILj512ELj32ELj1024ELj137ELj64EliEEvT5_PKS1_S3_PKT4_S3_S6_S3_S6_S3_S6_PS1_21rocsparse_index_base_S8_S8_S8_bb.numbered_sgpr, 43
	.set _ZN9rocsparseL35csrgemm_symbolic_fill_block_per_rowILj512ELj32ELj1024ELj137ELj64EliEEvT5_PKS1_S3_PKT4_S3_S6_S3_S6_S3_S6_PS1_21rocsparse_index_base_S8_S8_S8_bb.num_named_barrier, 0
	.set _ZN9rocsparseL35csrgemm_symbolic_fill_block_per_rowILj512ELj32ELj1024ELj137ELj64EliEEvT5_PKS1_S3_PKT4_S3_S6_S3_S6_S3_S6_PS1_21rocsparse_index_base_S8_S8_S8_bb.private_seg_size, 0
	.set _ZN9rocsparseL35csrgemm_symbolic_fill_block_per_rowILj512ELj32ELj1024ELj137ELj64EliEEvT5_PKS1_S3_PKT4_S3_S6_S3_S6_S3_S6_PS1_21rocsparse_index_base_S8_S8_S8_bb.uses_vcc, 1
	.set _ZN9rocsparseL35csrgemm_symbolic_fill_block_per_rowILj512ELj32ELj1024ELj137ELj64EliEEvT5_PKS1_S3_PKT4_S3_S6_S3_S6_S3_S6_PS1_21rocsparse_index_base_S8_S8_S8_bb.uses_flat_scratch, 0
	.set _ZN9rocsparseL35csrgemm_symbolic_fill_block_per_rowILj512ELj32ELj1024ELj137ELj64EliEEvT5_PKS1_S3_PKT4_S3_S6_S3_S6_S3_S6_PS1_21rocsparse_index_base_S8_S8_S8_bb.has_dyn_sized_stack, 0
	.set _ZN9rocsparseL35csrgemm_symbolic_fill_block_per_rowILj512ELj32ELj1024ELj137ELj64EliEEvT5_PKS1_S3_PKT4_S3_S6_S3_S6_S3_S6_PS1_21rocsparse_index_base_S8_S8_S8_bb.has_recursion, 0
	.set _ZN9rocsparseL35csrgemm_symbolic_fill_block_per_rowILj512ELj32ELj1024ELj137ELj64EliEEvT5_PKS1_S3_PKT4_S3_S6_S3_S6_S3_S6_PS1_21rocsparse_index_base_S8_S8_S8_bb.has_indirect_call, 0
	.section	.AMDGPU.csdata,"",@progbits
; Kernel info:
; codeLenInByte = 2196
; TotalNumSgprs: 47
; NumVgprs: 17
; ScratchSize: 0
; MemoryBound: 0
; FloatMode: 240
; IeeeMode: 1
; LDSByteSize: 0 bytes/workgroup (compile time only)
; SGPRBlocks: 5
; VGPRBlocks: 4
; NumSGPRsForWavesPerEU: 47
; NumVGPRsForWavesPerEU: 17
; Occupancy: 10
; WaveLimiterHint : 1
; COMPUTE_PGM_RSRC2:SCRATCH_EN: 0
; COMPUTE_PGM_RSRC2:USER_SGPR: 6
; COMPUTE_PGM_RSRC2:TRAP_HANDLER: 0
; COMPUTE_PGM_RSRC2:TGID_X_EN: 1
; COMPUTE_PGM_RSRC2:TGID_Y_EN: 0
; COMPUTE_PGM_RSRC2:TGID_Z_EN: 0
; COMPUTE_PGM_RSRC2:TIDIG_COMP_CNT: 0
	.section	.text._ZN9rocsparseL35csrgemm_symbolic_fill_block_per_rowILj1024ELj32ELj2048ELj137ELj32EliEEvT5_PKS1_S3_PKT4_S3_S6_S3_S6_S3_S6_PS1_21rocsparse_index_base_S8_S8_S8_bb,"axG",@progbits,_ZN9rocsparseL35csrgemm_symbolic_fill_block_per_rowILj1024ELj32ELj2048ELj137ELj32EliEEvT5_PKS1_S3_PKT4_S3_S6_S3_S6_S3_S6_PS1_21rocsparse_index_base_S8_S8_S8_bb,comdat
	.globl	_ZN9rocsparseL35csrgemm_symbolic_fill_block_per_rowILj1024ELj32ELj2048ELj137ELj32EliEEvT5_PKS1_S3_PKT4_S3_S6_S3_S6_S3_S6_PS1_21rocsparse_index_base_S8_S8_S8_bb ; -- Begin function _ZN9rocsparseL35csrgemm_symbolic_fill_block_per_rowILj1024ELj32ELj2048ELj137ELj32EliEEvT5_PKS1_S3_PKT4_S3_S6_S3_S6_S3_S6_PS1_21rocsparse_index_base_S8_S8_S8_bb
	.p2align	8
	.type	_ZN9rocsparseL35csrgemm_symbolic_fill_block_per_rowILj1024ELj32ELj2048ELj137ELj32EliEEvT5_PKS1_S3_PKT4_S3_S6_S3_S6_S3_S6_PS1_21rocsparse_index_base_S8_S8_S8_bb,@function
_ZN9rocsparseL35csrgemm_symbolic_fill_block_per_rowILj1024ELj32ELj2048ELj137ELj32EliEEvT5_PKS1_S3_PKT4_S3_S6_S3_S6_S3_S6_PS1_21rocsparse_index_base_S8_S8_S8_bb: ; @_ZN9rocsparseL35csrgemm_symbolic_fill_block_per_rowILj1024ELj32ELj2048ELj137ELj32EliEEvT5_PKS1_S3_PKT4_S3_S6_S3_S6_S3_S6_PS1_21rocsparse_index_base_S8_S8_S8_bb
; %bb.0:
	s_load_dwordx4 s[68:71], s[4:5], 0x48
	s_load_dwordx8 s[8:15], s[4:5], 0x28
	s_load_dword s33, s[4:5], 0x0
	s_load_dwordx8 s[16:23], s[4:5], 0x8
	v_or_b32_e32 v7, 0xfffffc00, v0
	v_lshl_add_u32 v8, v0, 2, 0
	s_mov_b64 s[0:1], 0
	s_waitcnt lgkmcnt(0)
	v_mov_b32_e32 v1, s33
	v_mov_b32_e32 v2, v8
	;; [unrolled: 1-line block ×3, first 2 shown]
.LBB34_1:                               ; =>This Inner Loop Header: Depth=1
	v_add_co_u32_e32 v3, vcc, 0x400, v3
	s_xor_b64 s[2:3], vcc, -1
	s_and_b64 s[2:3], exec, s[2:3]
	ds_write_b32 v2, v1
	s_or_b64 s[0:1], s[2:3], s[0:1]
	v_add_u32_e32 v2, 0x1000, v2
	s_andn2_b64 exec, exec, s[0:1]
	s_cbranch_execnz .LBB34_1
; %bb.2:
	s_or_b64 exec, exec, s[0:1]
	s_load_dword s30, s[4:5], 0x68
	s_waitcnt lgkmcnt(0)
	s_barrier
	s_load_dword s2, s[16:17], 0x0
	s_load_dwordx4 s[64:67], s[4:5], 0x58
	s_bitcmp1_b32 s30, 0
	s_cselect_b64 s[0:1], -1, 0
	s_mov_b32 s3, 0
	s_waitcnt lgkmcnt(0)
	s_add_i32 s2, s2, s6
	s_lshl_b64 s[2:3], s[2:3], 2
	s_add_u32 s2, s18, s2
	s_addc_u32 s3, s19, s3
	s_load_dword s72, s[2:3], 0x0
	v_lshrrev_b32_e32 v9, 5, v0
	s_and_b64 vcc, exec, s[0:1]
	s_cbranch_vccz .LBB34_18
; %bb.3:
	s_waitcnt lgkmcnt(0)
	s_ashr_i32 s73, s72, 31
	s_lshl_b64 s[0:1], s[72:73], 3
	s_add_u32 s0, s20, s0
	s_addc_u32 s1, s21, s1
	s_load_dwordx4 s[4:7], s[0:1], 0x0
	v_subrev_co_u32_e32 v1, vcc, s64, v9
	v_subb_co_u32_e64 v2, s[0:1], 0, 0, vcc
	s_waitcnt lgkmcnt(0)
	s_sub_u32 s0, s6, s64
	v_mov_b32_e32 v3, s5
	v_add_co_u32_e32 v1, vcc, s4, v1
	s_subb_u32 s1, s7, 0
	v_addc_co_u32_e32 v2, vcc, v3, v2, vcc
	v_cmp_gt_i64_e32 vcc, s[0:1], v[1:2]
	s_and_saveexec_b64 s[2:3], vcc
	s_cbranch_execz .LBB34_17
; %bb.4:
	v_and_b32_e32 v3, 31, v0
	v_subrev_co_u32_e32 v10, vcc, s65, v3
	v_subb_co_u32_e64 v11, s[4:5], 0, 0, vcc
	s_mov_b32 s31, s65
	s_mov_b64 s[4:5], 0
	v_mov_b32_e32 v12, s23
	v_mov_b32_e32 v13, s9
	s_movk_i32 s9, 0x89
	s_branch .LBB34_6
.LBB34_5:                               ;   in Loop: Header=BB34_6 Depth=1
	s_or_b64 exec, exec, s[6:7]
	v_add_co_u32_e32 v1, vcc, 32, v1
	v_addc_co_u32_e32 v2, vcc, 0, v2, vcc
	v_cmp_le_i64_e32 vcc, s[0:1], v[1:2]
	s_or_b64 s[4:5], vcc, s[4:5]
	s_andn2_b64 exec, exec, s[4:5]
	s_cbranch_execz .LBB34_17
.LBB34_6:                               ; =>This Loop Header: Depth=1
                                        ;     Child Loop BB34_9 Depth 2
                                        ;       Child Loop BB34_12 Depth 3
	v_lshlrev_b64 v[3:4], 2, v[1:2]
	v_add_co_u32_e32 v3, vcc, s22, v3
	v_addc_co_u32_e32 v4, vcc, v12, v4, vcc
	global_load_dword v3, v[3:4], off
	s_waitcnt vmcnt(0)
	v_subrev_u32_e32 v3, s64, v3
	v_ashrrev_i32_e32 v4, 31, v3
	v_lshlrev_b64 v[3:4], 3, v[3:4]
	v_add_co_u32_e32 v3, vcc, s8, v3
	v_addc_co_u32_e32 v4, vcc, v13, v4, vcc
	global_load_dwordx4 v[14:17], v[3:4], off
	s_waitcnt vmcnt(0)
	v_subrev_co_u32_e32 v3, vcc, s31, v16
	v_subbrev_co_u32_e32 v4, vcc, 0, v17, vcc
	v_add_co_u32_e32 v5, vcc, v14, v10
	v_addc_co_u32_e32 v6, vcc, v15, v11, vcc
	v_cmp_lt_i64_e32 vcc, v[5:6], v[3:4]
	s_and_saveexec_b64 s[6:7], vcc
	s_cbranch_execz .LBB34_5
; %bb.7:                                ;   in Loop: Header=BB34_6 Depth=1
	s_mov_b64 s[16:17], 0
	s_branch .LBB34_9
.LBB34_8:                               ;   in Loop: Header=BB34_9 Depth=2
	s_or_b64 exec, exec, s[18:19]
	v_add_co_u32_e32 v5, vcc, 32, v5
	v_addc_co_u32_e32 v6, vcc, 0, v6, vcc
	v_cmp_ge_i64_e32 vcc, v[5:6], v[3:4]
	s_or_b64 s[16:17], vcc, s[16:17]
	s_andn2_b64 exec, exec, s[16:17]
	s_cbranch_execz .LBB34_5
.LBB34_9:                               ;   Parent Loop BB34_6 Depth=1
                                        ; =>  This Loop Header: Depth=2
                                        ;       Child Loop BB34_12 Depth 3
	v_lshlrev_b64 v[14:15], 2, v[5:6]
	v_mov_b32_e32 v16, s11
	v_add_co_u32_e32 v14, vcc, s10, v14
	v_addc_co_u32_e32 v15, vcc, v16, v15, vcc
	global_load_dword v14, v[14:15], off
	s_mov_b64 s[18:19], 0
                                        ; implicit-def: $sgpr20_sgpr21
	s_waitcnt vmcnt(0)
	v_subrev_u32_e32 v14, s65, v14
	v_mul_lo_u32 v15, v14, s9
	v_and_b32_e32 v15, 0x7ff, v15
	s_branch .LBB34_12
.LBB34_10:                              ;   in Loop: Header=BB34_12 Depth=3
	s_or_b64 exec, exec, s[26:27]
	s_andn2_b64 s[20:21], s[20:21], exec
	s_and_b64 s[26:27], s[28:29], exec
	s_or_b64 s[20:21], s[20:21], s[26:27]
.LBB34_11:                              ;   in Loop: Header=BB34_12 Depth=3
	s_or_b64 exec, exec, s[24:25]
	s_xor_b64 s[24:25], s[20:21], -1
	s_and_b64 s[24:25], exec, s[24:25]
	s_or_b64 s[18:19], s[24:25], s[18:19]
	s_andn2_b64 exec, exec, s[18:19]
	s_cbranch_execz .LBB34_8
.LBB34_12:                              ;   Parent Loop BB34_6 Depth=1
                                        ;     Parent Loop BB34_9 Depth=2
                                        ; =>    This Inner Loop Header: Depth=3
	v_lshl_add_u32 v16, v15, 2, 0
	ds_read_b32 v17, v16
	s_andn2_b64 s[20:21], s[20:21], exec
	s_waitcnt lgkmcnt(0)
	v_cmp_ne_u32_e32 vcc, v17, v14
	s_and_saveexec_b64 s[24:25], vcc
	s_cbranch_execz .LBB34_11
; %bb.13:                               ;   in Loop: Header=BB34_12 Depth=3
	v_cmp_ne_u32_e32 vcc, s33, v17
	s_and_saveexec_b64 s[26:27], vcc
	s_xor_b64 s[26:27], exec, s[26:27]
; %bb.14:                               ;   in Loop: Header=BB34_12 Depth=3
	v_add_u32_e32 v15, 1, v15
	v_and_b32_e32 v15, 0x7ff, v15
                                        ; implicit-def: $vgpr16
; %bb.15:                               ;   in Loop: Header=BB34_12 Depth=3
	s_or_saveexec_b64 s[26:27], s[26:27]
	s_mov_b64 s[28:29], -1
	s_xor_b64 exec, exec, s[26:27]
	s_cbranch_execz .LBB34_10
; %bb.16:                               ;   in Loop: Header=BB34_12 Depth=3
	v_mov_b32_e32 v17, s33
	ds_cmpst_rtn_b32 v16, v16, v17, v14
	s_waitcnt lgkmcnt(0)
	v_cmp_ne_u32_e32 vcc, s33, v16
	s_orn2_b64 s[28:29], vcc, exec
	s_branch .LBB34_10
.LBB34_17:
	s_or_b64 exec, exec, s[2:3]
.LBB34_18:
	s_bfe_u32 s0, s30, 0x10008
	s_cmp_eq_u32 s0, 0
	s_cbranch_scc1 .LBB34_31
; %bb.19:
	s_waitcnt lgkmcnt(0)
	s_ashr_i32 s73, s72, 31
	s_lshl_b64 s[0:1], s[72:73], 3
	s_add_u32 s0, s12, s0
	s_addc_u32 s1, s13, s1
	s_load_dwordx4 s[4:7], s[0:1], 0x0
	v_subrev_co_u32_e32 v1, vcc, s67, v0
	v_subb_co_u32_e64 v2, s[0:1], 0, 0, vcc
	s_waitcnt lgkmcnt(0)
	s_sub_u32 s0, s6, s67
	v_mov_b32_e32 v3, s5
	v_add_co_u32_e32 v1, vcc, s4, v1
	s_subb_u32 s1, s7, 0
	v_addc_co_u32_e32 v2, vcc, v3, v2, vcc
	v_cmp_gt_i64_e32 vcc, s[0:1], v[1:2]
	s_and_saveexec_b64 s[2:3], vcc
	s_cbranch_execz .LBB34_30
; %bb.20:
	s_mov_b64 s[4:5], 0
	v_mov_b32_e32 v3, s15
	s_movk_i32 s15, 0x89
	s_branch .LBB34_22
.LBB34_21:                              ;   in Loop: Header=BB34_22 Depth=1
	s_or_b64 exec, exec, s[6:7]
	v_add_co_u32_e32 v1, vcc, 0x400, v1
	v_addc_co_u32_e32 v2, vcc, 0, v2, vcc
	v_cmp_le_i64_e32 vcc, s[0:1], v[1:2]
	s_or_b64 s[4:5], vcc, s[4:5]
	s_andn2_b64 exec, exec, s[4:5]
	s_cbranch_execz .LBB34_30
.LBB34_22:                              ; =>This Loop Header: Depth=1
                                        ;     Child Loop BB34_25 Depth 2
	v_lshlrev_b64 v[4:5], 2, v[1:2]
	s_mov_b64 s[6:7], 0
	v_add_co_u32_e32 v4, vcc, s14, v4
	v_addc_co_u32_e32 v5, vcc, v3, v5, vcc
	global_load_dword v4, v[4:5], off
                                        ; implicit-def: $sgpr8_sgpr9
	s_waitcnt vmcnt(0)
	v_subrev_u32_e32 v4, s67, v4
	v_mul_lo_u32 v5, v4, s15
	v_and_b32_e32 v5, 0x7ff, v5
	s_branch .LBB34_25
.LBB34_23:                              ;   in Loop: Header=BB34_25 Depth=2
	s_or_b64 exec, exec, s[12:13]
	s_andn2_b64 s[8:9], s[8:9], exec
	s_and_b64 s[12:13], s[16:17], exec
	s_or_b64 s[8:9], s[8:9], s[12:13]
.LBB34_24:                              ;   in Loop: Header=BB34_25 Depth=2
	s_or_b64 exec, exec, s[10:11]
	s_xor_b64 s[10:11], s[8:9], -1
	s_and_b64 s[10:11], exec, s[10:11]
	s_or_b64 s[6:7], s[10:11], s[6:7]
	s_andn2_b64 exec, exec, s[6:7]
	s_cbranch_execz .LBB34_21
.LBB34_25:                              ;   Parent Loop BB34_22 Depth=1
                                        ; =>  This Inner Loop Header: Depth=2
	v_lshl_add_u32 v6, v5, 2, 0
	ds_read_b32 v10, v6
	s_andn2_b64 s[8:9], s[8:9], exec
	s_waitcnt lgkmcnt(0)
	v_cmp_ne_u32_e32 vcc, v10, v4
	s_and_saveexec_b64 s[10:11], vcc
	s_cbranch_execz .LBB34_24
; %bb.26:                               ;   in Loop: Header=BB34_25 Depth=2
	v_cmp_ne_u32_e32 vcc, s33, v10
	s_and_saveexec_b64 s[12:13], vcc
	s_xor_b64 s[12:13], exec, s[12:13]
; %bb.27:                               ;   in Loop: Header=BB34_25 Depth=2
	v_add_u32_e32 v5, 1, v5
	v_and_b32_e32 v5, 0x7ff, v5
                                        ; implicit-def: $vgpr6
; %bb.28:                               ;   in Loop: Header=BB34_25 Depth=2
	s_or_saveexec_b64 s[12:13], s[12:13]
	s_mov_b64 s[16:17], -1
	s_xor_b64 exec, exec, s[12:13]
	s_cbranch_execz .LBB34_23
; %bb.29:                               ;   in Loop: Header=BB34_25 Depth=2
	v_mov_b32_e32 v10, s33
	ds_cmpst_rtn_b32 v6, v6, v10, v4
	s_waitcnt lgkmcnt(0)
	v_cmp_ne_u32_e32 vcc, s33, v6
	s_orn2_b64 s[16:17], vcc, exec
	s_branch .LBB34_23
.LBB34_30:
	s_or_b64 exec, exec, s[2:3]
.LBB34_31:
	v_mbcnt_lo_u32_b32 v1, -1, 0
	v_mbcnt_hi_u32_b32 v1, -1, v1
	v_sub_u32_e32 v1, 63, v1
	v_lshrrev_b64 v[1:2], v1, -1
	s_movk_i32 s0, 0x3ff
	s_movk_i32 s2, 0x5f
	;; [unrolled: 1-line block ×30, first 2 shown]
	v_mov_b32_e32 v3, 0
	v_lshl_add_u32 v4, v9, 2, 0
	v_cmp_eq_u32_e64 s[0:1], s0, v0
	v_cmp_lt_u32_e64 s[2:3], s2, v0
	v_cmp_lt_u32_e64 s[4:5], s4, v0
	;; [unrolled: 1-line block ×29, first 2 shown]
	v_mov_b32_e32 v5, 0
	v_cmp_lt_u32_e64 s[62:63], 31, v0
	v_cmp_lt_u32_e64 s[64:65], 63, v0
	s_mov_b64 s[74:75], 0
	s_waitcnt lgkmcnt(0)
	s_barrier
	s_branch .LBB34_33
.LBB34_32:                              ;   in Loop: Header=BB34_33 Depth=1
	s_or_b64 exec, exec, s[76:77]
	s_waitcnt lgkmcnt(0)
	s_barrier
	ds_read_b32 v6, v3 offset:8316
	v_add_co_u32_e32 v7, vcc, 0x400, v7
	s_xor_b64 s[76:77], vcc, -1
	s_and_b64 s[76:77], exec, s[76:77]
	s_waitcnt lgkmcnt(0)
	v_add_u32_e32 v5, v6, v5
	s_or_b64 s[74:75], s[76:77], s[74:75]
	v_add_u32_e32 v8, 0x1000, v8
	s_andn2_b64 exec, exec, s[74:75]
	s_cbranch_execz .LBB34_99
.LBB34_33:                              ; =>This Inner Loop Header: Depth=1
	ds_read_b32 v6, v8
	s_waitcnt lgkmcnt(0)
	s_barrier
	v_cmp_gt_i32_e32 vcc, s33, v6
	v_and_b32_e32 v10, vcc_lo, v1
	s_bcnt1_i32_b64 s67, vcc
	v_and_b32_e32 v9, vcc_hi, v2
	v_bcnt_u32_b32 v10, v10, 0
	v_bcnt_u32_b32 v9, v9, v10
	v_mov_b32_e32 v10, s67
	ds_write_b32 v4, v10 offset:8192
	s_waitcnt lgkmcnt(0)
	s_barrier
	s_and_saveexec_b64 s[76:77], s[62:63]
	s_cbranch_execnz .LBB34_66
; %bb.34:                               ;   in Loop: Header=BB34_33 Depth=1
	s_or_b64 exec, exec, s[76:77]
	s_and_saveexec_b64 s[76:77], s[64:65]
	s_cbranch_execnz .LBB34_67
.LBB34_35:                              ;   in Loop: Header=BB34_33 Depth=1
	s_or_b64 exec, exec, s[76:77]
	s_and_saveexec_b64 s[76:77], s[2:3]
	s_cbranch_execnz .LBB34_68
.LBB34_36:                              ;   in Loop: Header=BB34_33 Depth=1
	s_or_b64 exec, exec, s[76:77]
	s_and_saveexec_b64 s[76:77], s[4:5]
	s_cbranch_execnz .LBB34_69
.LBB34_37:                              ;   in Loop: Header=BB34_33 Depth=1
	s_or_b64 exec, exec, s[76:77]
	s_and_saveexec_b64 s[76:77], s[6:7]
	s_cbranch_execnz .LBB34_70
.LBB34_38:                              ;   in Loop: Header=BB34_33 Depth=1
	s_or_b64 exec, exec, s[76:77]
	s_and_saveexec_b64 s[76:77], s[8:9]
	s_cbranch_execnz .LBB34_71
.LBB34_39:                              ;   in Loop: Header=BB34_33 Depth=1
	s_or_b64 exec, exec, s[76:77]
	s_and_saveexec_b64 s[76:77], s[10:11]
	s_cbranch_execnz .LBB34_72
.LBB34_40:                              ;   in Loop: Header=BB34_33 Depth=1
	s_or_b64 exec, exec, s[76:77]
	s_and_saveexec_b64 s[76:77], s[12:13]
	s_cbranch_execnz .LBB34_73
.LBB34_41:                              ;   in Loop: Header=BB34_33 Depth=1
	s_or_b64 exec, exec, s[76:77]
	s_and_saveexec_b64 s[76:77], s[14:15]
	s_cbranch_execnz .LBB34_74
.LBB34_42:                              ;   in Loop: Header=BB34_33 Depth=1
	s_or_b64 exec, exec, s[76:77]
	s_and_saveexec_b64 s[76:77], s[16:17]
	s_cbranch_execnz .LBB34_75
.LBB34_43:                              ;   in Loop: Header=BB34_33 Depth=1
	s_or_b64 exec, exec, s[76:77]
	s_and_saveexec_b64 s[76:77], s[18:19]
	s_cbranch_execnz .LBB34_76
.LBB34_44:                              ;   in Loop: Header=BB34_33 Depth=1
	s_or_b64 exec, exec, s[76:77]
	s_and_saveexec_b64 s[76:77], s[20:21]
	s_cbranch_execnz .LBB34_77
.LBB34_45:                              ;   in Loop: Header=BB34_33 Depth=1
	s_or_b64 exec, exec, s[76:77]
	s_and_saveexec_b64 s[76:77], s[22:23]
	s_cbranch_execnz .LBB34_78
.LBB34_46:                              ;   in Loop: Header=BB34_33 Depth=1
	s_or_b64 exec, exec, s[76:77]
	s_and_saveexec_b64 s[76:77], s[24:25]
	s_cbranch_execnz .LBB34_79
.LBB34_47:                              ;   in Loop: Header=BB34_33 Depth=1
	s_or_b64 exec, exec, s[76:77]
	s_and_saveexec_b64 s[76:77], s[26:27]
	s_cbranch_execnz .LBB34_80
.LBB34_48:                              ;   in Loop: Header=BB34_33 Depth=1
	s_or_b64 exec, exec, s[76:77]
	s_and_saveexec_b64 s[76:77], s[28:29]
	s_cbranch_execnz .LBB34_81
.LBB34_49:                              ;   in Loop: Header=BB34_33 Depth=1
	s_or_b64 exec, exec, s[76:77]
	s_and_saveexec_b64 s[76:77], s[30:31]
	s_cbranch_execnz .LBB34_82
.LBB34_50:                              ;   in Loop: Header=BB34_33 Depth=1
	s_or_b64 exec, exec, s[76:77]
	s_and_saveexec_b64 s[76:77], s[34:35]
	s_cbranch_execnz .LBB34_83
.LBB34_51:                              ;   in Loop: Header=BB34_33 Depth=1
	s_or_b64 exec, exec, s[76:77]
	s_and_saveexec_b64 s[76:77], s[36:37]
	s_cbranch_execnz .LBB34_84
.LBB34_52:                              ;   in Loop: Header=BB34_33 Depth=1
	s_or_b64 exec, exec, s[76:77]
	s_and_saveexec_b64 s[76:77], s[38:39]
	s_cbranch_execnz .LBB34_85
.LBB34_53:                              ;   in Loop: Header=BB34_33 Depth=1
	s_or_b64 exec, exec, s[76:77]
	s_and_saveexec_b64 s[76:77], s[40:41]
	s_cbranch_execnz .LBB34_86
.LBB34_54:                              ;   in Loop: Header=BB34_33 Depth=1
	s_or_b64 exec, exec, s[76:77]
	s_and_saveexec_b64 s[76:77], s[42:43]
	s_cbranch_execnz .LBB34_87
.LBB34_55:                              ;   in Loop: Header=BB34_33 Depth=1
	s_or_b64 exec, exec, s[76:77]
	s_and_saveexec_b64 s[76:77], s[44:45]
	s_cbranch_execnz .LBB34_88
.LBB34_56:                              ;   in Loop: Header=BB34_33 Depth=1
	s_or_b64 exec, exec, s[76:77]
	s_and_saveexec_b64 s[76:77], s[46:47]
	s_cbranch_execnz .LBB34_89
.LBB34_57:                              ;   in Loop: Header=BB34_33 Depth=1
	s_or_b64 exec, exec, s[76:77]
	s_and_saveexec_b64 s[76:77], s[48:49]
	s_cbranch_execnz .LBB34_90
.LBB34_58:                              ;   in Loop: Header=BB34_33 Depth=1
	s_or_b64 exec, exec, s[76:77]
	s_and_saveexec_b64 s[76:77], s[50:51]
	s_cbranch_execnz .LBB34_91
.LBB34_59:                              ;   in Loop: Header=BB34_33 Depth=1
	s_or_b64 exec, exec, s[76:77]
	s_and_saveexec_b64 s[76:77], s[52:53]
	s_cbranch_execnz .LBB34_92
.LBB34_60:                              ;   in Loop: Header=BB34_33 Depth=1
	s_or_b64 exec, exec, s[76:77]
	s_and_saveexec_b64 s[76:77], s[54:55]
	s_cbranch_execnz .LBB34_93
.LBB34_61:                              ;   in Loop: Header=BB34_33 Depth=1
	s_or_b64 exec, exec, s[76:77]
	s_and_saveexec_b64 s[76:77], s[56:57]
	s_cbranch_execnz .LBB34_94
.LBB34_62:                              ;   in Loop: Header=BB34_33 Depth=1
	s_or_b64 exec, exec, s[76:77]
	s_and_saveexec_b64 s[76:77], s[58:59]
	s_cbranch_execnz .LBB34_95
.LBB34_63:                              ;   in Loop: Header=BB34_33 Depth=1
	s_or_b64 exec, exec, s[76:77]
	s_and_saveexec_b64 s[76:77], s[60:61]
	s_cbranch_execnz .LBB34_96
.LBB34_64:                              ;   in Loop: Header=BB34_33 Depth=1
	s_or_b64 exec, exec, s[76:77]
	s_and_saveexec_b64 s[76:77], vcc
	s_cbranch_execnz .LBB34_97
.LBB34_65:                              ;   in Loop: Header=BB34_33 Depth=1
	s_or_b64 exec, exec, s[76:77]
	s_and_saveexec_b64 s[76:77], s[0:1]
	s_cbranch_execz .LBB34_32
	s_branch .LBB34_98
.LBB34_66:                              ;   in Loop: Header=BB34_33 Depth=1
	ds_read_b32 v10, v3 offset:8192
	s_waitcnt lgkmcnt(0)
	v_add_u32_e32 v9, v10, v9
	s_or_b64 exec, exec, s[76:77]
	s_and_saveexec_b64 s[76:77], s[64:65]
	s_cbranch_execz .LBB34_35
.LBB34_67:                              ;   in Loop: Header=BB34_33 Depth=1
	ds_read_b32 v10, v3 offset:8196
	s_waitcnt lgkmcnt(0)
	v_add_u32_e32 v9, v10, v9
	s_or_b64 exec, exec, s[76:77]
	s_and_saveexec_b64 s[76:77], s[2:3]
	s_cbranch_execz .LBB34_36
.LBB34_68:                              ;   in Loop: Header=BB34_33 Depth=1
	ds_read_b32 v10, v3 offset:8200
	s_waitcnt lgkmcnt(0)
	v_add_u32_e32 v9, v10, v9
	s_or_b64 exec, exec, s[76:77]
	s_and_saveexec_b64 s[76:77], s[4:5]
	s_cbranch_execz .LBB34_37
.LBB34_69:                              ;   in Loop: Header=BB34_33 Depth=1
	ds_read_b32 v10, v3 offset:8204
	s_waitcnt lgkmcnt(0)
	v_add_u32_e32 v9, v10, v9
	s_or_b64 exec, exec, s[76:77]
	s_and_saveexec_b64 s[76:77], s[6:7]
	s_cbranch_execz .LBB34_38
.LBB34_70:                              ;   in Loop: Header=BB34_33 Depth=1
	ds_read_b32 v10, v3 offset:8208
	s_waitcnt lgkmcnt(0)
	v_add_u32_e32 v9, v10, v9
	s_or_b64 exec, exec, s[76:77]
	s_and_saveexec_b64 s[76:77], s[8:9]
	s_cbranch_execz .LBB34_39
.LBB34_71:                              ;   in Loop: Header=BB34_33 Depth=1
	ds_read_b32 v10, v3 offset:8212
	s_waitcnt lgkmcnt(0)
	v_add_u32_e32 v9, v10, v9
	s_or_b64 exec, exec, s[76:77]
	s_and_saveexec_b64 s[76:77], s[10:11]
	s_cbranch_execz .LBB34_40
.LBB34_72:                              ;   in Loop: Header=BB34_33 Depth=1
	ds_read_b32 v10, v3 offset:8216
	s_waitcnt lgkmcnt(0)
	v_add_u32_e32 v9, v10, v9
	s_or_b64 exec, exec, s[76:77]
	s_and_saveexec_b64 s[76:77], s[12:13]
	s_cbranch_execz .LBB34_41
.LBB34_73:                              ;   in Loop: Header=BB34_33 Depth=1
	ds_read_b32 v10, v3 offset:8220
	s_waitcnt lgkmcnt(0)
	v_add_u32_e32 v9, v10, v9
	s_or_b64 exec, exec, s[76:77]
	s_and_saveexec_b64 s[76:77], s[14:15]
	s_cbranch_execz .LBB34_42
.LBB34_74:                              ;   in Loop: Header=BB34_33 Depth=1
	ds_read_b32 v10, v3 offset:8224
	s_waitcnt lgkmcnt(0)
	v_add_u32_e32 v9, v10, v9
	s_or_b64 exec, exec, s[76:77]
	s_and_saveexec_b64 s[76:77], s[16:17]
	s_cbranch_execz .LBB34_43
.LBB34_75:                              ;   in Loop: Header=BB34_33 Depth=1
	ds_read_b32 v10, v3 offset:8228
	s_waitcnt lgkmcnt(0)
	v_add_u32_e32 v9, v10, v9
	s_or_b64 exec, exec, s[76:77]
	s_and_saveexec_b64 s[76:77], s[18:19]
	s_cbranch_execz .LBB34_44
.LBB34_76:                              ;   in Loop: Header=BB34_33 Depth=1
	ds_read_b32 v10, v3 offset:8232
	s_waitcnt lgkmcnt(0)
	v_add_u32_e32 v9, v10, v9
	s_or_b64 exec, exec, s[76:77]
	s_and_saveexec_b64 s[76:77], s[20:21]
	s_cbranch_execz .LBB34_45
.LBB34_77:                              ;   in Loop: Header=BB34_33 Depth=1
	ds_read_b32 v10, v3 offset:8236
	s_waitcnt lgkmcnt(0)
	v_add_u32_e32 v9, v10, v9
	s_or_b64 exec, exec, s[76:77]
	s_and_saveexec_b64 s[76:77], s[22:23]
	s_cbranch_execz .LBB34_46
.LBB34_78:                              ;   in Loop: Header=BB34_33 Depth=1
	ds_read_b32 v10, v3 offset:8240
	s_waitcnt lgkmcnt(0)
	v_add_u32_e32 v9, v10, v9
	s_or_b64 exec, exec, s[76:77]
	s_and_saveexec_b64 s[76:77], s[24:25]
	s_cbranch_execz .LBB34_47
.LBB34_79:                              ;   in Loop: Header=BB34_33 Depth=1
	ds_read_b32 v10, v3 offset:8244
	s_waitcnt lgkmcnt(0)
	v_add_u32_e32 v9, v10, v9
	s_or_b64 exec, exec, s[76:77]
	s_and_saveexec_b64 s[76:77], s[26:27]
	s_cbranch_execz .LBB34_48
.LBB34_80:                              ;   in Loop: Header=BB34_33 Depth=1
	ds_read_b32 v10, v3 offset:8248
	s_waitcnt lgkmcnt(0)
	v_add_u32_e32 v9, v10, v9
	s_or_b64 exec, exec, s[76:77]
	s_and_saveexec_b64 s[76:77], s[28:29]
	s_cbranch_execz .LBB34_49
.LBB34_81:                              ;   in Loop: Header=BB34_33 Depth=1
	ds_read_b32 v10, v3 offset:8252
	s_waitcnt lgkmcnt(0)
	v_add_u32_e32 v9, v10, v9
	s_or_b64 exec, exec, s[76:77]
	s_and_saveexec_b64 s[76:77], s[30:31]
	s_cbranch_execz .LBB34_50
.LBB34_82:                              ;   in Loop: Header=BB34_33 Depth=1
	ds_read_b32 v10, v3 offset:8256
	s_waitcnt lgkmcnt(0)
	v_add_u32_e32 v9, v10, v9
	s_or_b64 exec, exec, s[76:77]
	s_and_saveexec_b64 s[76:77], s[34:35]
	s_cbranch_execz .LBB34_51
.LBB34_83:                              ;   in Loop: Header=BB34_33 Depth=1
	ds_read_b32 v10, v3 offset:8260
	s_waitcnt lgkmcnt(0)
	v_add_u32_e32 v9, v10, v9
	s_or_b64 exec, exec, s[76:77]
	s_and_saveexec_b64 s[76:77], s[36:37]
	s_cbranch_execz .LBB34_52
.LBB34_84:                              ;   in Loop: Header=BB34_33 Depth=1
	ds_read_b32 v10, v3 offset:8264
	s_waitcnt lgkmcnt(0)
	v_add_u32_e32 v9, v10, v9
	s_or_b64 exec, exec, s[76:77]
	s_and_saveexec_b64 s[76:77], s[38:39]
	s_cbranch_execz .LBB34_53
.LBB34_85:                              ;   in Loop: Header=BB34_33 Depth=1
	ds_read_b32 v10, v3 offset:8268
	s_waitcnt lgkmcnt(0)
	v_add_u32_e32 v9, v10, v9
	s_or_b64 exec, exec, s[76:77]
	s_and_saveexec_b64 s[76:77], s[40:41]
	s_cbranch_execz .LBB34_54
.LBB34_86:                              ;   in Loop: Header=BB34_33 Depth=1
	ds_read_b32 v10, v3 offset:8272
	s_waitcnt lgkmcnt(0)
	v_add_u32_e32 v9, v10, v9
	s_or_b64 exec, exec, s[76:77]
	s_and_saveexec_b64 s[76:77], s[42:43]
	s_cbranch_execz .LBB34_55
.LBB34_87:                              ;   in Loop: Header=BB34_33 Depth=1
	ds_read_b32 v10, v3 offset:8276
	s_waitcnt lgkmcnt(0)
	v_add_u32_e32 v9, v10, v9
	s_or_b64 exec, exec, s[76:77]
	s_and_saveexec_b64 s[76:77], s[44:45]
	s_cbranch_execz .LBB34_56
.LBB34_88:                              ;   in Loop: Header=BB34_33 Depth=1
	ds_read_b32 v10, v3 offset:8280
	s_waitcnt lgkmcnt(0)
	v_add_u32_e32 v9, v10, v9
	s_or_b64 exec, exec, s[76:77]
	s_and_saveexec_b64 s[76:77], s[46:47]
	s_cbranch_execz .LBB34_57
.LBB34_89:                              ;   in Loop: Header=BB34_33 Depth=1
	ds_read_b32 v10, v3 offset:8284
	s_waitcnt lgkmcnt(0)
	v_add_u32_e32 v9, v10, v9
	s_or_b64 exec, exec, s[76:77]
	s_and_saveexec_b64 s[76:77], s[48:49]
	s_cbranch_execz .LBB34_58
.LBB34_90:                              ;   in Loop: Header=BB34_33 Depth=1
	ds_read_b32 v10, v3 offset:8288
	s_waitcnt lgkmcnt(0)
	v_add_u32_e32 v9, v10, v9
	s_or_b64 exec, exec, s[76:77]
	s_and_saveexec_b64 s[76:77], s[50:51]
	s_cbranch_execz .LBB34_59
.LBB34_91:                              ;   in Loop: Header=BB34_33 Depth=1
	ds_read_b32 v10, v3 offset:8292
	s_waitcnt lgkmcnt(0)
	v_add_u32_e32 v9, v10, v9
	s_or_b64 exec, exec, s[76:77]
	s_and_saveexec_b64 s[76:77], s[52:53]
	s_cbranch_execz .LBB34_60
.LBB34_92:                              ;   in Loop: Header=BB34_33 Depth=1
	ds_read_b32 v10, v3 offset:8296
	s_waitcnt lgkmcnt(0)
	v_add_u32_e32 v9, v10, v9
	s_or_b64 exec, exec, s[76:77]
	s_and_saveexec_b64 s[76:77], s[54:55]
	s_cbranch_execz .LBB34_61
.LBB34_93:                              ;   in Loop: Header=BB34_33 Depth=1
	ds_read_b32 v10, v3 offset:8300
	s_waitcnt lgkmcnt(0)
	v_add_u32_e32 v9, v10, v9
	s_or_b64 exec, exec, s[76:77]
	s_and_saveexec_b64 s[76:77], s[56:57]
	s_cbranch_execz .LBB34_62
.LBB34_94:                              ;   in Loop: Header=BB34_33 Depth=1
	ds_read_b32 v10, v3 offset:8304
	s_waitcnt lgkmcnt(0)
	v_add_u32_e32 v9, v10, v9
	s_or_b64 exec, exec, s[76:77]
	s_and_saveexec_b64 s[76:77], s[58:59]
	s_cbranch_execz .LBB34_63
.LBB34_95:                              ;   in Loop: Header=BB34_33 Depth=1
	ds_read_b32 v10, v3 offset:8308
	s_waitcnt lgkmcnt(0)
	v_add_u32_e32 v9, v10, v9
	s_or_b64 exec, exec, s[76:77]
	s_and_saveexec_b64 s[76:77], s[60:61]
	s_cbranch_execz .LBB34_64
.LBB34_96:                              ;   in Loop: Header=BB34_33 Depth=1
	ds_read_b32 v10, v3 offset:8312
	s_waitcnt lgkmcnt(0)
	v_add_u32_e32 v9, v10, v9
	s_or_b64 exec, exec, s[76:77]
	s_and_saveexec_b64 s[76:77], vcc
	s_cbranch_execz .LBB34_65
.LBB34_97:                              ;   in Loop: Header=BB34_33 Depth=1
	v_lshlrev_b32_e32 v10, 2, v5
	v_add_u32_e32 v10, 0, v10
	v_lshlrev_b32_e32 v11, 2, v9
	v_add3_u32 v10, v10, v11, -4
	ds_write_b32 v10, v6
	s_or_b64 exec, exec, s[76:77]
	s_and_saveexec_b64 s[76:77], s[0:1]
	s_cbranch_execz .LBB34_32
.LBB34_98:                              ;   in Loop: Header=BB34_33 Depth=1
	ds_write_b32 v3, v9 offset:8316
	s_branch .LBB34_32
.LBB34_99:
	s_or_b64 exec, exec, s[74:75]
	s_ashr_i32 s73, s72, 31
	s_lshl_b64 s[0:1], s[72:73], 3
	s_add_u32 s4, s68, s0
	s_addc_u32 s5, s69, s1
	s_load_dwordx4 s[0:3], s[4:5], 0x0
	s_waitcnt lgkmcnt(0)
	s_sub_i32 s8, s2, s0
	v_cmp_gt_i32_e32 vcc, s8, v0
	s_and_saveexec_b64 s[4:5], vcc
	s_cbranch_execz .LBB34_109
; %bb.100:
	s_sub_u32 s4, s0, s66
	s_subb_u32 s5, s1, 0
	s_and_b32 s9, s8, 7
	s_sub_i32 s0, s0, s2
	s_cmp_lt_u32 s0, -7
	s_cselect_b64 s[0:1], -1, 0
	s_and_b32 s10, s8, -8
	s_cmp_lg_u32 s9, 0
	v_cndmask_b32_e64 v1, 0, 1, s[0:1]
	s_mov_b64 s[2:3], 0
	s_cselect_b64 s[6:7], -1, 0
	v_cmp_ne_u32_e64 s[0:1], 1, v1
	s_branch .LBB34_102
.LBB34_101:                             ;   in Loop: Header=BB34_102 Depth=1
	v_lshlrev_b64 v[1:2], 2, v[1:2]
	v_mov_b32_e32 v4, s71
	v_add_co_u32_e32 v1, vcc, s70, v1
	v_addc_co_u32_e32 v2, vcc, v4, v2, vcc
	v_add_u32_e32 v0, 0x400, v0
	v_cmp_le_i32_e32 vcc, s8, v0
	s_waitcnt lgkmcnt(0)
	v_add_u32_e32 v3, s66, v3
	s_or_b64 s[2:3], vcc, s[2:3]
	global_store_dword v[1:2], v3, off
	s_andn2_b64 exec, exec, s[2:3]
	s_cbranch_execz .LBB34_109
.LBB34_102:                             ; =>This Loop Header: Depth=1
                                        ;     Child Loop BB34_104 Depth 2
                                        ;     Child Loop BB34_108 Depth 2
	v_lshl_add_u32 v1, v0, 2, 0
	ds_read_b32 v3, v1
	v_mov_b32_e32 v1, s4
	s_and_b64 vcc, exec, s[0:1]
	v_mov_b32_e32 v2, s5
	s_mov_b32 s11, 0
	s_cbranch_vccnz .LBB34_106
; %bb.103:                              ;   in Loop: Header=BB34_102 Depth=1
	v_mov_b32_e32 v1, s4
	s_mov_b32 s12, 0
	v_mov_b32_e32 v2, s5
.LBB34_104:                             ;   Parent Loop BB34_102 Depth=1
                                        ; =>  This Inner Loop Header: Depth=2
	v_mov_b32_e32 v10, s12
	ds_read2_b32 v[4:5], v10 offset1:1
	ds_read2_b32 v[6:7], v10 offset0:2 offset1:3
	ds_read2_b32 v[8:9], v10 offset0:4 offset1:5
	;; [unrolled: 1-line block ×3, first 2 shown]
	s_add_i32 s11, s11, 8
	s_waitcnt lgkmcnt(3)
	v_cmp_gt_i32_e32 vcc, v3, v4
	v_cndmask_b32_e64 v4, 0, 1, vcc
	v_cmp_gt_i32_e32 vcc, v3, v5
	v_cndmask_b32_e64 v5, 0, 1, vcc
	s_waitcnt lgkmcnt(2)
	v_cmp_gt_i32_e32 vcc, v3, v6
	v_cndmask_b32_e64 v6, 0, 1, vcc
	v_cmp_gt_i32_e32 vcc, v3, v7
	v_cndmask_b32_e64 v7, 0, 1, vcc
	;; [unrolled: 5-line block ×4, first 2 shown]
	v_add_co_u32_e32 v1, vcc, v1, v4
	v_addc_co_u32_e32 v2, vcc, 0, v2, vcc
	v_add_co_u32_e32 v1, vcc, v1, v5
	v_addc_co_u32_e32 v2, vcc, 0, v2, vcc
	;; [unrolled: 2-line block ×7, first 2 shown]
	s_add_i32 s12, s12, 32
	v_add_co_u32_e32 v1, vcc, v1, v11
	s_cmp_eq_u32 s10, s11
	v_addc_co_u32_e32 v2, vcc, 0, v2, vcc
	s_cbranch_scc0 .LBB34_104
; %bb.105:                              ;   in Loop: Header=BB34_102 Depth=1
	s_mov_b32 s11, s10
.LBB34_106:                             ;   in Loop: Header=BB34_102 Depth=1
	s_andn2_b64 vcc, exec, s[6:7]
	s_cbranch_vccnz .LBB34_101
; %bb.107:                              ;   in Loop: Header=BB34_102 Depth=1
	s_lshl_b32 s11, s11, 2
	s_add_i32 s11, s11, 0
	s_mov_b32 s12, s9
.LBB34_108:                             ;   Parent Loop BB34_102 Depth=1
                                        ; =>  This Inner Loop Header: Depth=2
	v_mov_b32_e32 v4, s11
	ds_read_b32 v4, v4
	s_add_i32 s11, s11, 4
	s_add_i32 s12, s12, -1
	s_cmp_lg_u32 s12, 0
	s_waitcnt lgkmcnt(0)
	v_cmp_gt_i32_e32 vcc, v3, v4
	v_cndmask_b32_e64 v4, 0, 1, vcc
	v_add_co_u32_e32 v1, vcc, v1, v4
	v_addc_co_u32_e32 v2, vcc, 0, v2, vcc
	s_cbranch_scc1 .LBB34_108
	s_branch .LBB34_101
.LBB34_109:
	s_endpgm
	.section	.rodata,"a",@progbits
	.p2align	6, 0x0
	.amdhsa_kernel _ZN9rocsparseL35csrgemm_symbolic_fill_block_per_rowILj1024ELj32ELj2048ELj137ELj32EliEEvT5_PKS1_S3_PKT4_S3_S6_S3_S6_S3_S6_PS1_21rocsparse_index_base_S8_S8_S8_bb
		.amdhsa_group_segment_fixed_size 0
		.amdhsa_private_segment_fixed_size 0
		.amdhsa_kernarg_size 108
		.amdhsa_user_sgpr_count 6
		.amdhsa_user_sgpr_private_segment_buffer 1
		.amdhsa_user_sgpr_dispatch_ptr 0
		.amdhsa_user_sgpr_queue_ptr 0
		.amdhsa_user_sgpr_kernarg_segment_ptr 1
		.amdhsa_user_sgpr_dispatch_id 0
		.amdhsa_user_sgpr_flat_scratch_init 0
		.amdhsa_user_sgpr_private_segment_size 0
		.amdhsa_uses_dynamic_stack 0
		.amdhsa_system_sgpr_private_segment_wavefront_offset 0
		.amdhsa_system_sgpr_workgroup_id_x 1
		.amdhsa_system_sgpr_workgroup_id_y 0
		.amdhsa_system_sgpr_workgroup_id_z 0
		.amdhsa_system_sgpr_workgroup_info 0
		.amdhsa_system_vgpr_workitem_id 0
		.amdhsa_next_free_vgpr 18
		.amdhsa_next_free_sgpr 78
		.amdhsa_reserve_vcc 1
		.amdhsa_reserve_flat_scratch 0
		.amdhsa_float_round_mode_32 0
		.amdhsa_float_round_mode_16_64 0
		.amdhsa_float_denorm_mode_32 3
		.amdhsa_float_denorm_mode_16_64 3
		.amdhsa_dx10_clamp 1
		.amdhsa_ieee_mode 1
		.amdhsa_fp16_overflow 0
		.amdhsa_exception_fp_ieee_invalid_op 0
		.amdhsa_exception_fp_denorm_src 0
		.amdhsa_exception_fp_ieee_div_zero 0
		.amdhsa_exception_fp_ieee_overflow 0
		.amdhsa_exception_fp_ieee_underflow 0
		.amdhsa_exception_fp_ieee_inexact 0
		.amdhsa_exception_int_div_zero 0
	.end_amdhsa_kernel
	.section	.text._ZN9rocsparseL35csrgemm_symbolic_fill_block_per_rowILj1024ELj32ELj2048ELj137ELj32EliEEvT5_PKS1_S3_PKT4_S3_S6_S3_S6_S3_S6_PS1_21rocsparse_index_base_S8_S8_S8_bb,"axG",@progbits,_ZN9rocsparseL35csrgemm_symbolic_fill_block_per_rowILj1024ELj32ELj2048ELj137ELj32EliEEvT5_PKS1_S3_PKT4_S3_S6_S3_S6_S3_S6_PS1_21rocsparse_index_base_S8_S8_S8_bb,comdat
.Lfunc_end34:
	.size	_ZN9rocsparseL35csrgemm_symbolic_fill_block_per_rowILj1024ELj32ELj2048ELj137ELj32EliEEvT5_PKS1_S3_PKT4_S3_S6_S3_S6_S3_S6_PS1_21rocsparse_index_base_S8_S8_S8_bb, .Lfunc_end34-_ZN9rocsparseL35csrgemm_symbolic_fill_block_per_rowILj1024ELj32ELj2048ELj137ELj32EliEEvT5_PKS1_S3_PKT4_S3_S6_S3_S6_S3_S6_PS1_21rocsparse_index_base_S8_S8_S8_bb
                                        ; -- End function
	.set _ZN9rocsparseL35csrgemm_symbolic_fill_block_per_rowILj1024ELj32ELj2048ELj137ELj32EliEEvT5_PKS1_S3_PKT4_S3_S6_S3_S6_S3_S6_PS1_21rocsparse_index_base_S8_S8_S8_bb.num_vgpr, 18
	.set _ZN9rocsparseL35csrgemm_symbolic_fill_block_per_rowILj1024ELj32ELj2048ELj137ELj32EliEEvT5_PKS1_S3_PKT4_S3_S6_S3_S6_S3_S6_PS1_21rocsparse_index_base_S8_S8_S8_bb.num_agpr, 0
	.set _ZN9rocsparseL35csrgemm_symbolic_fill_block_per_rowILj1024ELj32ELj2048ELj137ELj32EliEEvT5_PKS1_S3_PKT4_S3_S6_S3_S6_S3_S6_PS1_21rocsparse_index_base_S8_S8_S8_bb.numbered_sgpr, 78
	.set _ZN9rocsparseL35csrgemm_symbolic_fill_block_per_rowILj1024ELj32ELj2048ELj137ELj32EliEEvT5_PKS1_S3_PKT4_S3_S6_S3_S6_S3_S6_PS1_21rocsparse_index_base_S8_S8_S8_bb.num_named_barrier, 0
	.set _ZN9rocsparseL35csrgemm_symbolic_fill_block_per_rowILj1024ELj32ELj2048ELj137ELj32EliEEvT5_PKS1_S3_PKT4_S3_S6_S3_S6_S3_S6_PS1_21rocsparse_index_base_S8_S8_S8_bb.private_seg_size, 0
	.set _ZN9rocsparseL35csrgemm_symbolic_fill_block_per_rowILj1024ELj32ELj2048ELj137ELj32EliEEvT5_PKS1_S3_PKT4_S3_S6_S3_S6_S3_S6_PS1_21rocsparse_index_base_S8_S8_S8_bb.uses_vcc, 1
	.set _ZN9rocsparseL35csrgemm_symbolic_fill_block_per_rowILj1024ELj32ELj2048ELj137ELj32EliEEvT5_PKS1_S3_PKT4_S3_S6_S3_S6_S3_S6_PS1_21rocsparse_index_base_S8_S8_S8_bb.uses_flat_scratch, 0
	.set _ZN9rocsparseL35csrgemm_symbolic_fill_block_per_rowILj1024ELj32ELj2048ELj137ELj32EliEEvT5_PKS1_S3_PKT4_S3_S6_S3_S6_S3_S6_PS1_21rocsparse_index_base_S8_S8_S8_bb.has_dyn_sized_stack, 0
	.set _ZN9rocsparseL35csrgemm_symbolic_fill_block_per_rowILj1024ELj32ELj2048ELj137ELj32EliEEvT5_PKS1_S3_PKT4_S3_S6_S3_S6_S3_S6_PS1_21rocsparse_index_base_S8_S8_S8_bb.has_recursion, 0
	.set _ZN9rocsparseL35csrgemm_symbolic_fill_block_per_rowILj1024ELj32ELj2048ELj137ELj32EliEEvT5_PKS1_S3_PKT4_S3_S6_S3_S6_S3_S6_PS1_21rocsparse_index_base_S8_S8_S8_bb.has_indirect_call, 0
	.section	.AMDGPU.csdata,"",@progbits
; Kernel info:
; codeLenInByte = 3436
; TotalNumSgprs: 82
; NumVgprs: 18
; ScratchSize: 0
; MemoryBound: 0
; FloatMode: 240
; IeeeMode: 1
; LDSByteSize: 0 bytes/workgroup (compile time only)
; SGPRBlocks: 10
; VGPRBlocks: 4
; NumSGPRsForWavesPerEU: 82
; NumVGPRsForWavesPerEU: 18
; Occupancy: 9
; WaveLimiterHint : 1
; COMPUTE_PGM_RSRC2:SCRATCH_EN: 0
; COMPUTE_PGM_RSRC2:USER_SGPR: 6
; COMPUTE_PGM_RSRC2:TRAP_HANDLER: 0
; COMPUTE_PGM_RSRC2:TGID_X_EN: 1
; COMPUTE_PGM_RSRC2:TGID_Y_EN: 0
; COMPUTE_PGM_RSRC2:TGID_Z_EN: 0
; COMPUTE_PGM_RSRC2:TIDIG_COMP_CNT: 0
	.section	.text._ZN9rocsparseL35csrgemm_symbolic_fill_block_per_rowILj1024ELj32ELj2048ELj137ELj64EliEEvT5_PKS1_S3_PKT4_S3_S6_S3_S6_S3_S6_PS1_21rocsparse_index_base_S8_S8_S8_bb,"axG",@progbits,_ZN9rocsparseL35csrgemm_symbolic_fill_block_per_rowILj1024ELj32ELj2048ELj137ELj64EliEEvT5_PKS1_S3_PKT4_S3_S6_S3_S6_S3_S6_PS1_21rocsparse_index_base_S8_S8_S8_bb,comdat
	.globl	_ZN9rocsparseL35csrgemm_symbolic_fill_block_per_rowILj1024ELj32ELj2048ELj137ELj64EliEEvT5_PKS1_S3_PKT4_S3_S6_S3_S6_S3_S6_PS1_21rocsparse_index_base_S8_S8_S8_bb ; -- Begin function _ZN9rocsparseL35csrgemm_symbolic_fill_block_per_rowILj1024ELj32ELj2048ELj137ELj64EliEEvT5_PKS1_S3_PKT4_S3_S6_S3_S6_S3_S6_PS1_21rocsparse_index_base_S8_S8_S8_bb
	.p2align	8
	.type	_ZN9rocsparseL35csrgemm_symbolic_fill_block_per_rowILj1024ELj32ELj2048ELj137ELj64EliEEvT5_PKS1_S3_PKT4_S3_S6_S3_S6_S3_S6_PS1_21rocsparse_index_base_S8_S8_S8_bb,@function
_ZN9rocsparseL35csrgemm_symbolic_fill_block_per_rowILj1024ELj32ELj2048ELj137ELj64EliEEvT5_PKS1_S3_PKT4_S3_S6_S3_S6_S3_S6_PS1_21rocsparse_index_base_S8_S8_S8_bb: ; @_ZN9rocsparseL35csrgemm_symbolic_fill_block_per_rowILj1024ELj32ELj2048ELj137ELj64EliEEvT5_PKS1_S3_PKT4_S3_S6_S3_S6_S3_S6_PS1_21rocsparse_index_base_S8_S8_S8_bb
; %bb.0:
	s_load_dwordx4 s[36:39], s[4:5], 0x48
	s_load_dwordx8 s[8:15], s[4:5], 0x28
	s_load_dword s33, s[4:5], 0x0
	s_load_dwordx8 s[16:23], s[4:5], 0x8
	v_or_b32_e32 v7, 0xfffffc00, v0
	v_lshl_add_u32 v8, v0, 2, 0
	s_mov_b64 s[0:1], 0
	s_waitcnt lgkmcnt(0)
	v_mov_b32_e32 v1, s33
	v_mov_b32_e32 v2, v8
	;; [unrolled: 1-line block ×3, first 2 shown]
.LBB35_1:                               ; =>This Inner Loop Header: Depth=1
	v_add_co_u32_e32 v3, vcc, 0x400, v3
	s_xor_b64 s[2:3], vcc, -1
	s_and_b64 s[2:3], exec, s[2:3]
	ds_write_b32 v2, v1
	s_or_b64 s[0:1], s[2:3], s[0:1]
	v_add_u32_e32 v2, 0x1000, v2
	s_andn2_b64 exec, exec, s[0:1]
	s_cbranch_execnz .LBB35_1
; %bb.2:
	s_or_b64 exec, exec, s[0:1]
	s_load_dword s30, s[4:5], 0x68
	s_waitcnt lgkmcnt(0)
	s_barrier
	s_load_dword s2, s[16:17], 0x0
	s_load_dwordx4 s[40:43], s[4:5], 0x58
	s_bitcmp1_b32 s30, 0
	s_cselect_b64 s[0:1], -1, 0
	s_mov_b32 s3, 0
	s_waitcnt lgkmcnt(0)
	s_add_i32 s2, s2, s6
	s_lshl_b64 s[2:3], s[2:3], 2
	s_add_u32 s2, s18, s2
	s_addc_u32 s3, s19, s3
	s_load_dword s34, s[2:3], 0x0
	s_and_b64 vcc, exec, s[0:1]
	s_cbranch_vccz .LBB35_18
; %bb.3:
	s_waitcnt lgkmcnt(0)
	s_ashr_i32 s35, s34, 31
	s_lshl_b64 s[0:1], s[34:35], 3
	s_add_u32 s0, s20, s0
	s_addc_u32 s1, s21, s1
	s_load_dwordx4 s[4:7], s[0:1], 0x0
	v_lshrrev_b32_e32 v1, 5, v0
	v_subrev_co_u32_e32 v1, vcc, s40, v1
	v_subb_co_u32_e64 v2, s[2:3], 0, 0, vcc
	s_waitcnt lgkmcnt(0)
	s_sub_u32 s0, s6, s40
	v_mov_b32_e32 v3, s5
	v_add_co_u32_e32 v1, vcc, s4, v1
	s_subb_u32 s1, s7, 0
	v_addc_co_u32_e32 v2, vcc, v3, v2, vcc
	v_cmp_gt_i64_e32 vcc, s[0:1], v[1:2]
	s_and_saveexec_b64 s[2:3], vcc
	s_cbranch_execz .LBB35_17
; %bb.4:
	v_and_b32_e32 v3, 31, v0
	v_subrev_co_u32_e32 v9, vcc, s41, v3
	v_subb_co_u32_e64 v10, s[4:5], 0, 0, vcc
	s_mov_b32 s31, s41
	s_mov_b64 s[4:5], 0
	v_mov_b32_e32 v11, s23
	v_mov_b32_e32 v12, s9
	s_movk_i32 s9, 0x89
	s_branch .LBB35_6
.LBB35_5:                               ;   in Loop: Header=BB35_6 Depth=1
	s_or_b64 exec, exec, s[6:7]
	v_add_co_u32_e32 v1, vcc, 32, v1
	v_addc_co_u32_e32 v2, vcc, 0, v2, vcc
	v_cmp_le_i64_e32 vcc, s[0:1], v[1:2]
	s_or_b64 s[4:5], vcc, s[4:5]
	s_andn2_b64 exec, exec, s[4:5]
	s_cbranch_execz .LBB35_17
.LBB35_6:                               ; =>This Loop Header: Depth=1
                                        ;     Child Loop BB35_9 Depth 2
                                        ;       Child Loop BB35_12 Depth 3
	v_lshlrev_b64 v[3:4], 2, v[1:2]
	v_add_co_u32_e32 v3, vcc, s22, v3
	v_addc_co_u32_e32 v4, vcc, v11, v4, vcc
	global_load_dword v3, v[3:4], off
	s_waitcnt vmcnt(0)
	v_subrev_u32_e32 v3, s40, v3
	v_ashrrev_i32_e32 v4, 31, v3
	v_lshlrev_b64 v[3:4], 3, v[3:4]
	v_add_co_u32_e32 v3, vcc, s8, v3
	v_addc_co_u32_e32 v4, vcc, v12, v4, vcc
	global_load_dwordx4 v[13:16], v[3:4], off
	s_waitcnt vmcnt(0)
	v_subrev_co_u32_e32 v3, vcc, s31, v15
	v_subbrev_co_u32_e32 v4, vcc, 0, v16, vcc
	v_add_co_u32_e32 v5, vcc, v13, v9
	v_addc_co_u32_e32 v6, vcc, v14, v10, vcc
	v_cmp_lt_i64_e32 vcc, v[5:6], v[3:4]
	s_and_saveexec_b64 s[6:7], vcc
	s_cbranch_execz .LBB35_5
; %bb.7:                                ;   in Loop: Header=BB35_6 Depth=1
	s_mov_b64 s[16:17], 0
	s_branch .LBB35_9
.LBB35_8:                               ;   in Loop: Header=BB35_9 Depth=2
	s_or_b64 exec, exec, s[18:19]
	v_add_co_u32_e32 v5, vcc, 32, v5
	v_addc_co_u32_e32 v6, vcc, 0, v6, vcc
	v_cmp_ge_i64_e32 vcc, v[5:6], v[3:4]
	s_or_b64 s[16:17], vcc, s[16:17]
	s_andn2_b64 exec, exec, s[16:17]
	s_cbranch_execz .LBB35_5
.LBB35_9:                               ;   Parent Loop BB35_6 Depth=1
                                        ; =>  This Loop Header: Depth=2
                                        ;       Child Loop BB35_12 Depth 3
	v_lshlrev_b64 v[13:14], 2, v[5:6]
	v_mov_b32_e32 v15, s11
	v_add_co_u32_e32 v13, vcc, s10, v13
	v_addc_co_u32_e32 v14, vcc, v15, v14, vcc
	global_load_dword v13, v[13:14], off
	s_mov_b64 s[18:19], 0
                                        ; implicit-def: $sgpr20_sgpr21
	s_waitcnt vmcnt(0)
	v_subrev_u32_e32 v13, s41, v13
	v_mul_lo_u32 v14, v13, s9
	v_and_b32_e32 v14, 0x7ff, v14
	s_branch .LBB35_12
.LBB35_10:                              ;   in Loop: Header=BB35_12 Depth=3
	s_or_b64 exec, exec, s[26:27]
	s_andn2_b64 s[20:21], s[20:21], exec
	s_and_b64 s[26:27], s[28:29], exec
	s_or_b64 s[20:21], s[20:21], s[26:27]
.LBB35_11:                              ;   in Loop: Header=BB35_12 Depth=3
	s_or_b64 exec, exec, s[24:25]
	s_xor_b64 s[24:25], s[20:21], -1
	s_and_b64 s[24:25], exec, s[24:25]
	s_or_b64 s[18:19], s[24:25], s[18:19]
	s_andn2_b64 exec, exec, s[18:19]
	s_cbranch_execz .LBB35_8
.LBB35_12:                              ;   Parent Loop BB35_6 Depth=1
                                        ;     Parent Loop BB35_9 Depth=2
                                        ; =>    This Inner Loop Header: Depth=3
	v_lshl_add_u32 v15, v14, 2, 0
	ds_read_b32 v16, v15
	s_andn2_b64 s[20:21], s[20:21], exec
	s_waitcnt lgkmcnt(0)
	v_cmp_ne_u32_e32 vcc, v16, v13
	s_and_saveexec_b64 s[24:25], vcc
	s_cbranch_execz .LBB35_11
; %bb.13:                               ;   in Loop: Header=BB35_12 Depth=3
	v_cmp_ne_u32_e32 vcc, s33, v16
	s_and_saveexec_b64 s[26:27], vcc
	s_xor_b64 s[26:27], exec, s[26:27]
; %bb.14:                               ;   in Loop: Header=BB35_12 Depth=3
	v_add_u32_e32 v14, 1, v14
	v_and_b32_e32 v14, 0x7ff, v14
                                        ; implicit-def: $vgpr15
; %bb.15:                               ;   in Loop: Header=BB35_12 Depth=3
	s_or_saveexec_b64 s[26:27], s[26:27]
	s_mov_b64 s[28:29], -1
	s_xor_b64 exec, exec, s[26:27]
	s_cbranch_execz .LBB35_10
; %bb.16:                               ;   in Loop: Header=BB35_12 Depth=3
	v_mov_b32_e32 v16, s33
	ds_cmpst_rtn_b32 v15, v15, v16, v13
	s_waitcnt lgkmcnt(0)
	v_cmp_ne_u32_e32 vcc, s33, v15
	s_orn2_b64 s[28:29], vcc, exec
	s_branch .LBB35_10
.LBB35_17:
	s_or_b64 exec, exec, s[2:3]
.LBB35_18:
	s_bfe_u32 s0, s30, 0x10008
	s_cmp_eq_u32 s0, 0
	s_cbranch_scc1 .LBB35_31
; %bb.19:
	s_waitcnt lgkmcnt(0)
	s_ashr_i32 s35, s34, 31
	s_lshl_b64 s[0:1], s[34:35], 3
	s_add_u32 s0, s12, s0
	s_addc_u32 s1, s13, s1
	s_load_dwordx4 s[4:7], s[0:1], 0x0
	v_subrev_co_u32_e32 v1, vcc, s43, v0
	v_subb_co_u32_e64 v2, s[0:1], 0, 0, vcc
	s_waitcnt lgkmcnt(0)
	s_sub_u32 s0, s6, s43
	v_mov_b32_e32 v3, s5
	v_add_co_u32_e32 v1, vcc, s4, v1
	s_subb_u32 s1, s7, 0
	v_addc_co_u32_e32 v2, vcc, v3, v2, vcc
	v_cmp_gt_i64_e32 vcc, s[0:1], v[1:2]
	s_and_saveexec_b64 s[2:3], vcc
	s_cbranch_execz .LBB35_30
; %bb.20:
	s_mov_b64 s[4:5], 0
	v_mov_b32_e32 v3, s15
	s_movk_i32 s15, 0x89
	s_branch .LBB35_22
.LBB35_21:                              ;   in Loop: Header=BB35_22 Depth=1
	s_or_b64 exec, exec, s[6:7]
	v_add_co_u32_e32 v1, vcc, 0x400, v1
	v_addc_co_u32_e32 v2, vcc, 0, v2, vcc
	v_cmp_le_i64_e32 vcc, s[0:1], v[1:2]
	s_or_b64 s[4:5], vcc, s[4:5]
	s_andn2_b64 exec, exec, s[4:5]
	s_cbranch_execz .LBB35_30
.LBB35_22:                              ; =>This Loop Header: Depth=1
                                        ;     Child Loop BB35_25 Depth 2
	v_lshlrev_b64 v[4:5], 2, v[1:2]
	s_mov_b64 s[6:7], 0
	v_add_co_u32_e32 v4, vcc, s14, v4
	v_addc_co_u32_e32 v5, vcc, v3, v5, vcc
	global_load_dword v4, v[4:5], off
                                        ; implicit-def: $sgpr8_sgpr9
	s_waitcnt vmcnt(0)
	v_subrev_u32_e32 v4, s43, v4
	v_mul_lo_u32 v5, v4, s15
	v_and_b32_e32 v5, 0x7ff, v5
	s_branch .LBB35_25
.LBB35_23:                              ;   in Loop: Header=BB35_25 Depth=2
	s_or_b64 exec, exec, s[12:13]
	s_andn2_b64 s[8:9], s[8:9], exec
	s_and_b64 s[12:13], s[16:17], exec
	s_or_b64 s[8:9], s[8:9], s[12:13]
.LBB35_24:                              ;   in Loop: Header=BB35_25 Depth=2
	s_or_b64 exec, exec, s[10:11]
	s_xor_b64 s[10:11], s[8:9], -1
	s_and_b64 s[10:11], exec, s[10:11]
	s_or_b64 s[6:7], s[10:11], s[6:7]
	s_andn2_b64 exec, exec, s[6:7]
	s_cbranch_execz .LBB35_21
.LBB35_25:                              ;   Parent Loop BB35_22 Depth=1
                                        ; =>  This Inner Loop Header: Depth=2
	v_lshl_add_u32 v6, v5, 2, 0
	ds_read_b32 v9, v6
	s_andn2_b64 s[8:9], s[8:9], exec
	s_waitcnt lgkmcnt(0)
	v_cmp_ne_u32_e32 vcc, v9, v4
	s_and_saveexec_b64 s[10:11], vcc
	s_cbranch_execz .LBB35_24
; %bb.26:                               ;   in Loop: Header=BB35_25 Depth=2
	v_cmp_ne_u32_e32 vcc, s33, v9
	s_and_saveexec_b64 s[12:13], vcc
	s_xor_b64 s[12:13], exec, s[12:13]
; %bb.27:                               ;   in Loop: Header=BB35_25 Depth=2
	v_add_u32_e32 v5, 1, v5
	v_and_b32_e32 v5, 0x7ff, v5
                                        ; implicit-def: $vgpr6
; %bb.28:                               ;   in Loop: Header=BB35_25 Depth=2
	s_or_saveexec_b64 s[12:13], s[12:13]
	s_mov_b64 s[16:17], -1
	s_xor_b64 exec, exec, s[12:13]
	s_cbranch_execz .LBB35_23
; %bb.29:                               ;   in Loop: Header=BB35_25 Depth=2
	v_mov_b32_e32 v9, s33
	ds_cmpst_rtn_b32 v6, v6, v9, v4
	s_waitcnt lgkmcnt(0)
	v_cmp_ne_u32_e32 vcc, s33, v6
	s_orn2_b64 s[16:17], vcc, exec
	s_branch .LBB35_23
.LBB35_30:
	s_or_b64 exec, exec, s[2:3]
.LBB35_31:
	v_mbcnt_lo_u32_b32 v1, -1, 0
	v_mbcnt_hi_u32_b32 v1, -1, v1
	v_sub_u32_e32 v1, 63, v1
	v_lshrrev_b32_e32 v4, 4, v0
	v_lshrrev_b64 v[1:2], v1, -1
	v_and_b32_e32 v4, 60, v4
	s_movk_i32 s0, 0x3ff
	s_movk_i32 s4, 0x7f
	;; [unrolled: 1-line block ×15, first 2 shown]
	v_mov_b32_e32 v3, 0
	v_add_u32_e32 v4, 0, v4
	v_cmp_eq_u32_e64 s[0:1], s0, v0
	v_cmp_lt_u32_e64 s[2:3], 63, v0
	v_cmp_lt_u32_e64 s[4:5], s4, v0
	;; [unrolled: 1-line block ×15, first 2 shown]
	s_mov_b64 s[40:41], 0
	v_mov_b32_e32 v5, 0
	s_waitcnt lgkmcnt(0)
	s_barrier
	s_branch .LBB35_33
.LBB35_32:                              ;   in Loop: Header=BB35_33 Depth=1
	s_or_b64 exec, exec, s[44:45]
	s_waitcnt lgkmcnt(0)
	s_barrier
	ds_read_b32 v6, v3 offset:8252
	v_add_co_u32_e32 v7, vcc, 0x400, v7
	s_xor_b64 s[44:45], vcc, -1
	s_and_b64 s[44:45], exec, s[44:45]
	s_waitcnt lgkmcnt(0)
	v_add_u32_e32 v5, v6, v5
	s_or_b64 s[40:41], s[44:45], s[40:41]
	v_add_u32_e32 v8, 0x1000, v8
	s_andn2_b64 exec, exec, s[40:41]
	s_cbranch_execz .LBB35_67
.LBB35_33:                              ; =>This Inner Loop Header: Depth=1
	ds_read_b32 v6, v8
	s_waitcnt lgkmcnt(0)
	s_barrier
	v_cmp_gt_i32_e32 vcc, s33, v6
	v_and_b32_e32 v10, vcc_lo, v1
	s_bcnt1_i32_b64 s35, vcc
	v_and_b32_e32 v9, vcc_hi, v2
	v_bcnt_u32_b32 v10, v10, 0
	v_bcnt_u32_b32 v9, v9, v10
	v_mov_b32_e32 v10, s35
	ds_write_b32 v4, v10 offset:8192
	s_waitcnt lgkmcnt(0)
	s_barrier
	s_and_saveexec_b64 s[44:45], s[2:3]
	s_cbranch_execnz .LBB35_50
; %bb.34:                               ;   in Loop: Header=BB35_33 Depth=1
	s_or_b64 exec, exec, s[44:45]
	s_and_saveexec_b64 s[44:45], s[4:5]
	s_cbranch_execnz .LBB35_51
.LBB35_35:                              ;   in Loop: Header=BB35_33 Depth=1
	s_or_b64 exec, exec, s[44:45]
	s_and_saveexec_b64 s[44:45], s[6:7]
	s_cbranch_execnz .LBB35_52
.LBB35_36:                              ;   in Loop: Header=BB35_33 Depth=1
	s_or_b64 exec, exec, s[44:45]
	s_and_saveexec_b64 s[44:45], s[8:9]
	s_cbranch_execnz .LBB35_53
.LBB35_37:                              ;   in Loop: Header=BB35_33 Depth=1
	s_or_b64 exec, exec, s[44:45]
	s_and_saveexec_b64 s[44:45], s[10:11]
	s_cbranch_execnz .LBB35_54
.LBB35_38:                              ;   in Loop: Header=BB35_33 Depth=1
	s_or_b64 exec, exec, s[44:45]
	s_and_saveexec_b64 s[44:45], s[12:13]
	s_cbranch_execnz .LBB35_55
.LBB35_39:                              ;   in Loop: Header=BB35_33 Depth=1
	s_or_b64 exec, exec, s[44:45]
	s_and_saveexec_b64 s[44:45], s[14:15]
	s_cbranch_execnz .LBB35_56
.LBB35_40:                              ;   in Loop: Header=BB35_33 Depth=1
	s_or_b64 exec, exec, s[44:45]
	s_and_saveexec_b64 s[44:45], s[16:17]
	s_cbranch_execnz .LBB35_57
.LBB35_41:                              ;   in Loop: Header=BB35_33 Depth=1
	s_or_b64 exec, exec, s[44:45]
	s_and_saveexec_b64 s[44:45], s[18:19]
	s_cbranch_execnz .LBB35_58
.LBB35_42:                              ;   in Loop: Header=BB35_33 Depth=1
	s_or_b64 exec, exec, s[44:45]
	s_and_saveexec_b64 s[44:45], s[20:21]
	s_cbranch_execnz .LBB35_59
.LBB35_43:                              ;   in Loop: Header=BB35_33 Depth=1
	s_or_b64 exec, exec, s[44:45]
	s_and_saveexec_b64 s[44:45], s[22:23]
	s_cbranch_execnz .LBB35_60
.LBB35_44:                              ;   in Loop: Header=BB35_33 Depth=1
	s_or_b64 exec, exec, s[44:45]
	s_and_saveexec_b64 s[44:45], s[24:25]
	s_cbranch_execnz .LBB35_61
.LBB35_45:                              ;   in Loop: Header=BB35_33 Depth=1
	s_or_b64 exec, exec, s[44:45]
	s_and_saveexec_b64 s[44:45], s[26:27]
	s_cbranch_execnz .LBB35_62
.LBB35_46:                              ;   in Loop: Header=BB35_33 Depth=1
	s_or_b64 exec, exec, s[44:45]
	s_and_saveexec_b64 s[44:45], s[28:29]
	s_cbranch_execnz .LBB35_63
.LBB35_47:                              ;   in Loop: Header=BB35_33 Depth=1
	s_or_b64 exec, exec, s[44:45]
	s_and_saveexec_b64 s[44:45], s[30:31]
	s_cbranch_execnz .LBB35_64
.LBB35_48:                              ;   in Loop: Header=BB35_33 Depth=1
	s_or_b64 exec, exec, s[44:45]
	s_and_saveexec_b64 s[44:45], vcc
	s_cbranch_execnz .LBB35_65
.LBB35_49:                              ;   in Loop: Header=BB35_33 Depth=1
	s_or_b64 exec, exec, s[44:45]
	s_and_saveexec_b64 s[44:45], s[0:1]
	s_cbranch_execz .LBB35_32
	s_branch .LBB35_66
.LBB35_50:                              ;   in Loop: Header=BB35_33 Depth=1
	ds_read_b32 v10, v3 offset:8192
	s_waitcnt lgkmcnt(0)
	v_add_u32_e32 v9, v10, v9
	s_or_b64 exec, exec, s[44:45]
	s_and_saveexec_b64 s[44:45], s[4:5]
	s_cbranch_execz .LBB35_35
.LBB35_51:                              ;   in Loop: Header=BB35_33 Depth=1
	ds_read_b32 v10, v3 offset:8196
	s_waitcnt lgkmcnt(0)
	v_add_u32_e32 v9, v10, v9
	s_or_b64 exec, exec, s[44:45]
	s_and_saveexec_b64 s[44:45], s[6:7]
	s_cbranch_execz .LBB35_36
.LBB35_52:                              ;   in Loop: Header=BB35_33 Depth=1
	ds_read_b32 v10, v3 offset:8200
	s_waitcnt lgkmcnt(0)
	v_add_u32_e32 v9, v10, v9
	s_or_b64 exec, exec, s[44:45]
	s_and_saveexec_b64 s[44:45], s[8:9]
	s_cbranch_execz .LBB35_37
.LBB35_53:                              ;   in Loop: Header=BB35_33 Depth=1
	ds_read_b32 v10, v3 offset:8204
	s_waitcnt lgkmcnt(0)
	v_add_u32_e32 v9, v10, v9
	s_or_b64 exec, exec, s[44:45]
	s_and_saveexec_b64 s[44:45], s[10:11]
	s_cbranch_execz .LBB35_38
.LBB35_54:                              ;   in Loop: Header=BB35_33 Depth=1
	ds_read_b32 v10, v3 offset:8208
	s_waitcnt lgkmcnt(0)
	v_add_u32_e32 v9, v10, v9
	s_or_b64 exec, exec, s[44:45]
	s_and_saveexec_b64 s[44:45], s[12:13]
	s_cbranch_execz .LBB35_39
.LBB35_55:                              ;   in Loop: Header=BB35_33 Depth=1
	ds_read_b32 v10, v3 offset:8212
	s_waitcnt lgkmcnt(0)
	v_add_u32_e32 v9, v10, v9
	s_or_b64 exec, exec, s[44:45]
	s_and_saveexec_b64 s[44:45], s[14:15]
	s_cbranch_execz .LBB35_40
.LBB35_56:                              ;   in Loop: Header=BB35_33 Depth=1
	ds_read_b32 v10, v3 offset:8216
	s_waitcnt lgkmcnt(0)
	v_add_u32_e32 v9, v10, v9
	s_or_b64 exec, exec, s[44:45]
	s_and_saveexec_b64 s[44:45], s[16:17]
	s_cbranch_execz .LBB35_41
.LBB35_57:                              ;   in Loop: Header=BB35_33 Depth=1
	ds_read_b32 v10, v3 offset:8220
	s_waitcnt lgkmcnt(0)
	v_add_u32_e32 v9, v10, v9
	s_or_b64 exec, exec, s[44:45]
	s_and_saveexec_b64 s[44:45], s[18:19]
	s_cbranch_execz .LBB35_42
.LBB35_58:                              ;   in Loop: Header=BB35_33 Depth=1
	ds_read_b32 v10, v3 offset:8224
	s_waitcnt lgkmcnt(0)
	v_add_u32_e32 v9, v10, v9
	s_or_b64 exec, exec, s[44:45]
	s_and_saveexec_b64 s[44:45], s[20:21]
	s_cbranch_execz .LBB35_43
.LBB35_59:                              ;   in Loop: Header=BB35_33 Depth=1
	ds_read_b32 v10, v3 offset:8228
	s_waitcnt lgkmcnt(0)
	v_add_u32_e32 v9, v10, v9
	s_or_b64 exec, exec, s[44:45]
	s_and_saveexec_b64 s[44:45], s[22:23]
	s_cbranch_execz .LBB35_44
.LBB35_60:                              ;   in Loop: Header=BB35_33 Depth=1
	ds_read_b32 v10, v3 offset:8232
	s_waitcnt lgkmcnt(0)
	v_add_u32_e32 v9, v10, v9
	s_or_b64 exec, exec, s[44:45]
	s_and_saveexec_b64 s[44:45], s[24:25]
	s_cbranch_execz .LBB35_45
.LBB35_61:                              ;   in Loop: Header=BB35_33 Depth=1
	ds_read_b32 v10, v3 offset:8236
	s_waitcnt lgkmcnt(0)
	v_add_u32_e32 v9, v10, v9
	s_or_b64 exec, exec, s[44:45]
	s_and_saveexec_b64 s[44:45], s[26:27]
	s_cbranch_execz .LBB35_46
.LBB35_62:                              ;   in Loop: Header=BB35_33 Depth=1
	ds_read_b32 v10, v3 offset:8240
	s_waitcnt lgkmcnt(0)
	v_add_u32_e32 v9, v10, v9
	s_or_b64 exec, exec, s[44:45]
	s_and_saveexec_b64 s[44:45], s[28:29]
	s_cbranch_execz .LBB35_47
.LBB35_63:                              ;   in Loop: Header=BB35_33 Depth=1
	ds_read_b32 v10, v3 offset:8244
	s_waitcnt lgkmcnt(0)
	v_add_u32_e32 v9, v10, v9
	s_or_b64 exec, exec, s[44:45]
	s_and_saveexec_b64 s[44:45], s[30:31]
	s_cbranch_execz .LBB35_48
.LBB35_64:                              ;   in Loop: Header=BB35_33 Depth=1
	ds_read_b32 v10, v3 offset:8248
	s_waitcnt lgkmcnt(0)
	v_add_u32_e32 v9, v10, v9
	s_or_b64 exec, exec, s[44:45]
	s_and_saveexec_b64 s[44:45], vcc
	s_cbranch_execz .LBB35_49
.LBB35_65:                              ;   in Loop: Header=BB35_33 Depth=1
	v_lshlrev_b32_e32 v10, 2, v5
	v_add_u32_e32 v10, 0, v10
	v_lshlrev_b32_e32 v11, 2, v9
	v_add3_u32 v10, v10, v11, -4
	ds_write_b32 v10, v6
	s_or_b64 exec, exec, s[44:45]
	s_and_saveexec_b64 s[44:45], s[0:1]
	s_cbranch_execz .LBB35_32
.LBB35_66:                              ;   in Loop: Header=BB35_33 Depth=1
	ds_write_b32 v3, v9 offset:8252
	s_branch .LBB35_32
.LBB35_67:
	s_or_b64 exec, exec, s[40:41]
	s_ashr_i32 s35, s34, 31
	s_lshl_b64 s[0:1], s[34:35], 3
	s_add_u32 s4, s36, s0
	s_addc_u32 s5, s37, s1
	s_load_dwordx4 s[0:3], s[4:5], 0x0
	s_waitcnt lgkmcnt(0)
	s_sub_i32 s8, s2, s0
	v_cmp_gt_i32_e32 vcc, s8, v0
	s_and_saveexec_b64 s[4:5], vcc
	s_cbranch_execz .LBB35_77
; %bb.68:
	s_sub_u32 s4, s0, s42
	s_subb_u32 s5, s1, 0
	s_and_b32 s9, s8, 7
	s_sub_i32 s0, s0, s2
	s_cmp_lt_u32 s0, -7
	s_cselect_b64 s[0:1], -1, 0
	s_and_b32 s10, s8, -8
	s_cmp_lg_u32 s9, 0
	v_cndmask_b32_e64 v1, 0, 1, s[0:1]
	s_mov_b64 s[2:3], 0
	s_cselect_b64 s[6:7], -1, 0
	v_cmp_ne_u32_e64 s[0:1], 1, v1
	s_branch .LBB35_70
.LBB35_69:                              ;   in Loop: Header=BB35_70 Depth=1
	v_lshlrev_b64 v[1:2], 2, v[1:2]
	v_mov_b32_e32 v4, s39
	v_add_co_u32_e32 v1, vcc, s38, v1
	v_addc_co_u32_e32 v2, vcc, v4, v2, vcc
	v_add_u32_e32 v0, 0x400, v0
	v_cmp_le_i32_e32 vcc, s8, v0
	s_waitcnt lgkmcnt(0)
	v_add_u32_e32 v3, s42, v3
	s_or_b64 s[2:3], vcc, s[2:3]
	global_store_dword v[1:2], v3, off
	s_andn2_b64 exec, exec, s[2:3]
	s_cbranch_execz .LBB35_77
.LBB35_70:                              ; =>This Loop Header: Depth=1
                                        ;     Child Loop BB35_72 Depth 2
                                        ;     Child Loop BB35_76 Depth 2
	v_lshl_add_u32 v1, v0, 2, 0
	ds_read_b32 v3, v1
	v_mov_b32_e32 v1, s4
	s_and_b64 vcc, exec, s[0:1]
	v_mov_b32_e32 v2, s5
	s_mov_b32 s11, 0
	s_cbranch_vccnz .LBB35_74
; %bb.71:                               ;   in Loop: Header=BB35_70 Depth=1
	v_mov_b32_e32 v1, s4
	s_mov_b32 s12, 0
	v_mov_b32_e32 v2, s5
.LBB35_72:                              ;   Parent Loop BB35_70 Depth=1
                                        ; =>  This Inner Loop Header: Depth=2
	v_mov_b32_e32 v10, s12
	ds_read2_b32 v[4:5], v10 offset1:1
	ds_read2_b32 v[6:7], v10 offset0:2 offset1:3
	ds_read2_b32 v[8:9], v10 offset0:4 offset1:5
	;; [unrolled: 1-line block ×3, first 2 shown]
	s_add_i32 s11, s11, 8
	s_waitcnt lgkmcnt(3)
	v_cmp_gt_i32_e32 vcc, v3, v4
	v_cndmask_b32_e64 v4, 0, 1, vcc
	v_cmp_gt_i32_e32 vcc, v3, v5
	v_cndmask_b32_e64 v5, 0, 1, vcc
	s_waitcnt lgkmcnt(2)
	v_cmp_gt_i32_e32 vcc, v3, v6
	v_cndmask_b32_e64 v6, 0, 1, vcc
	v_cmp_gt_i32_e32 vcc, v3, v7
	v_cndmask_b32_e64 v7, 0, 1, vcc
	s_waitcnt lgkmcnt(1)
	v_cmp_gt_i32_e32 vcc, v3, v8
	v_cndmask_b32_e64 v8, 0, 1, vcc
	v_cmp_gt_i32_e32 vcc, v3, v9
	v_cndmask_b32_e64 v9, 0, 1, vcc
	s_waitcnt lgkmcnt(0)
	v_cmp_gt_i32_e32 vcc, v3, v10
	v_cndmask_b32_e64 v10, 0, 1, vcc
	v_cmp_gt_i32_e32 vcc, v3, v11
	v_cndmask_b32_e64 v11, 0, 1, vcc
	v_add_co_u32_e32 v1, vcc, v1, v4
	v_addc_co_u32_e32 v2, vcc, 0, v2, vcc
	v_add_co_u32_e32 v1, vcc, v1, v5
	v_addc_co_u32_e32 v2, vcc, 0, v2, vcc
	;; [unrolled: 2-line block ×7, first 2 shown]
	s_add_i32 s12, s12, 32
	v_add_co_u32_e32 v1, vcc, v1, v11
	s_cmp_eq_u32 s10, s11
	v_addc_co_u32_e32 v2, vcc, 0, v2, vcc
	s_cbranch_scc0 .LBB35_72
; %bb.73:                               ;   in Loop: Header=BB35_70 Depth=1
	s_mov_b32 s11, s10
.LBB35_74:                              ;   in Loop: Header=BB35_70 Depth=1
	s_andn2_b64 vcc, exec, s[6:7]
	s_cbranch_vccnz .LBB35_69
; %bb.75:                               ;   in Loop: Header=BB35_70 Depth=1
	s_lshl_b32 s11, s11, 2
	s_add_i32 s11, s11, 0
	s_mov_b32 s12, s9
.LBB35_76:                              ;   Parent Loop BB35_70 Depth=1
                                        ; =>  This Inner Loop Header: Depth=2
	v_mov_b32_e32 v4, s11
	ds_read_b32 v4, v4
	s_add_i32 s11, s11, 4
	s_add_i32 s12, s12, -1
	s_cmp_lg_u32 s12, 0
	s_waitcnt lgkmcnt(0)
	v_cmp_gt_i32_e32 vcc, v3, v4
	v_cndmask_b32_e64 v4, 0, 1, vcc
	v_add_co_u32_e32 v1, vcc, v1, v4
	v_addc_co_u32_e32 v2, vcc, 0, v2, vcc
	s_cbranch_scc1 .LBB35_76
	s_branch .LBB35_69
.LBB35_77:
	s_endpgm
	.section	.rodata,"a",@progbits
	.p2align	6, 0x0
	.amdhsa_kernel _ZN9rocsparseL35csrgemm_symbolic_fill_block_per_rowILj1024ELj32ELj2048ELj137ELj64EliEEvT5_PKS1_S3_PKT4_S3_S6_S3_S6_S3_S6_PS1_21rocsparse_index_base_S8_S8_S8_bb
		.amdhsa_group_segment_fixed_size 0
		.amdhsa_private_segment_fixed_size 0
		.amdhsa_kernarg_size 108
		.amdhsa_user_sgpr_count 6
		.amdhsa_user_sgpr_private_segment_buffer 1
		.amdhsa_user_sgpr_dispatch_ptr 0
		.amdhsa_user_sgpr_queue_ptr 0
		.amdhsa_user_sgpr_kernarg_segment_ptr 1
		.amdhsa_user_sgpr_dispatch_id 0
		.amdhsa_user_sgpr_flat_scratch_init 0
		.amdhsa_user_sgpr_private_segment_size 0
		.amdhsa_uses_dynamic_stack 0
		.amdhsa_system_sgpr_private_segment_wavefront_offset 0
		.amdhsa_system_sgpr_workgroup_id_x 1
		.amdhsa_system_sgpr_workgroup_id_y 0
		.amdhsa_system_sgpr_workgroup_id_z 0
		.amdhsa_system_sgpr_workgroup_info 0
		.amdhsa_system_vgpr_workitem_id 0
		.amdhsa_next_free_vgpr 17
		.amdhsa_next_free_sgpr 46
		.amdhsa_reserve_vcc 1
		.amdhsa_reserve_flat_scratch 0
		.amdhsa_float_round_mode_32 0
		.amdhsa_float_round_mode_16_64 0
		.amdhsa_float_denorm_mode_32 3
		.amdhsa_float_denorm_mode_16_64 3
		.amdhsa_dx10_clamp 1
		.amdhsa_ieee_mode 1
		.amdhsa_fp16_overflow 0
		.amdhsa_exception_fp_ieee_invalid_op 0
		.amdhsa_exception_fp_denorm_src 0
		.amdhsa_exception_fp_ieee_div_zero 0
		.amdhsa_exception_fp_ieee_overflow 0
		.amdhsa_exception_fp_ieee_underflow 0
		.amdhsa_exception_fp_ieee_inexact 0
		.amdhsa_exception_int_div_zero 0
	.end_amdhsa_kernel
	.section	.text._ZN9rocsparseL35csrgemm_symbolic_fill_block_per_rowILj1024ELj32ELj2048ELj137ELj64EliEEvT5_PKS1_S3_PKT4_S3_S6_S3_S6_S3_S6_PS1_21rocsparse_index_base_S8_S8_S8_bb,"axG",@progbits,_ZN9rocsparseL35csrgemm_symbolic_fill_block_per_rowILj1024ELj32ELj2048ELj137ELj64EliEEvT5_PKS1_S3_PKT4_S3_S6_S3_S6_S3_S6_PS1_21rocsparse_index_base_S8_S8_S8_bb,comdat
.Lfunc_end35:
	.size	_ZN9rocsparseL35csrgemm_symbolic_fill_block_per_rowILj1024ELj32ELj2048ELj137ELj64EliEEvT5_PKS1_S3_PKT4_S3_S6_S3_S6_S3_S6_PS1_21rocsparse_index_base_S8_S8_S8_bb, .Lfunc_end35-_ZN9rocsparseL35csrgemm_symbolic_fill_block_per_rowILj1024ELj32ELj2048ELj137ELj64EliEEvT5_PKS1_S3_PKT4_S3_S6_S3_S6_S3_S6_PS1_21rocsparse_index_base_S8_S8_S8_bb
                                        ; -- End function
	.set _ZN9rocsparseL35csrgemm_symbolic_fill_block_per_rowILj1024ELj32ELj2048ELj137ELj64EliEEvT5_PKS1_S3_PKT4_S3_S6_S3_S6_S3_S6_PS1_21rocsparse_index_base_S8_S8_S8_bb.num_vgpr, 17
	.set _ZN9rocsparseL35csrgemm_symbolic_fill_block_per_rowILj1024ELj32ELj2048ELj137ELj64EliEEvT5_PKS1_S3_PKT4_S3_S6_S3_S6_S3_S6_PS1_21rocsparse_index_base_S8_S8_S8_bb.num_agpr, 0
	.set _ZN9rocsparseL35csrgemm_symbolic_fill_block_per_rowILj1024ELj32ELj2048ELj137ELj64EliEEvT5_PKS1_S3_PKT4_S3_S6_S3_S6_S3_S6_PS1_21rocsparse_index_base_S8_S8_S8_bb.numbered_sgpr, 46
	.set _ZN9rocsparseL35csrgemm_symbolic_fill_block_per_rowILj1024ELj32ELj2048ELj137ELj64EliEEvT5_PKS1_S3_PKT4_S3_S6_S3_S6_S3_S6_PS1_21rocsparse_index_base_S8_S8_S8_bb.num_named_barrier, 0
	.set _ZN9rocsparseL35csrgemm_symbolic_fill_block_per_rowILj1024ELj32ELj2048ELj137ELj64EliEEvT5_PKS1_S3_PKT4_S3_S6_S3_S6_S3_S6_PS1_21rocsparse_index_base_S8_S8_S8_bb.private_seg_size, 0
	.set _ZN9rocsparseL35csrgemm_symbolic_fill_block_per_rowILj1024ELj32ELj2048ELj137ELj64EliEEvT5_PKS1_S3_PKT4_S3_S6_S3_S6_S3_S6_PS1_21rocsparse_index_base_S8_S8_S8_bb.uses_vcc, 1
	.set _ZN9rocsparseL35csrgemm_symbolic_fill_block_per_rowILj1024ELj32ELj2048ELj137ELj64EliEEvT5_PKS1_S3_PKT4_S3_S6_S3_S6_S3_S6_PS1_21rocsparse_index_base_S8_S8_S8_bb.uses_flat_scratch, 0
	.set _ZN9rocsparseL35csrgemm_symbolic_fill_block_per_rowILj1024ELj32ELj2048ELj137ELj64EliEEvT5_PKS1_S3_PKT4_S3_S6_S3_S6_S3_S6_PS1_21rocsparse_index_base_S8_S8_S8_bb.has_dyn_sized_stack, 0
	.set _ZN9rocsparseL35csrgemm_symbolic_fill_block_per_rowILj1024ELj32ELj2048ELj137ELj64EliEEvT5_PKS1_S3_PKT4_S3_S6_S3_S6_S3_S6_PS1_21rocsparse_index_base_S8_S8_S8_bb.has_recursion, 0
	.set _ZN9rocsparseL35csrgemm_symbolic_fill_block_per_rowILj1024ELj32ELj2048ELj137ELj64EliEEvT5_PKS1_S3_PKT4_S3_S6_S3_S6_S3_S6_PS1_21rocsparse_index_base_S8_S8_S8_bb.has_indirect_call, 0
	.section	.AMDGPU.csdata,"",@progbits
; Kernel info:
; codeLenInByte = 2612
; TotalNumSgprs: 50
; NumVgprs: 17
; ScratchSize: 0
; MemoryBound: 0
; FloatMode: 240
; IeeeMode: 1
; LDSByteSize: 0 bytes/workgroup (compile time only)
; SGPRBlocks: 6
; VGPRBlocks: 4
; NumSGPRsForWavesPerEU: 50
; NumVGPRsForWavesPerEU: 17
; Occupancy: 10
; WaveLimiterHint : 1
; COMPUTE_PGM_RSRC2:SCRATCH_EN: 0
; COMPUTE_PGM_RSRC2:USER_SGPR: 6
; COMPUTE_PGM_RSRC2:TRAP_HANDLER: 0
; COMPUTE_PGM_RSRC2:TGID_X_EN: 1
; COMPUTE_PGM_RSRC2:TGID_Y_EN: 0
; COMPUTE_PGM_RSRC2:TGID_Z_EN: 0
; COMPUTE_PGM_RSRC2:TIDIG_COMP_CNT: 0
	.section	.text._ZN9rocsparseL35csrgemm_symbolic_fill_block_per_rowILj1024ELj64ELj4096ELj137ELj32EliEEvT5_PKS1_S3_PKT4_S3_S6_S3_S6_S3_S6_PS1_21rocsparse_index_base_S8_S8_S8_bb,"axG",@progbits,_ZN9rocsparseL35csrgemm_symbolic_fill_block_per_rowILj1024ELj64ELj4096ELj137ELj32EliEEvT5_PKS1_S3_PKT4_S3_S6_S3_S6_S3_S6_PS1_21rocsparse_index_base_S8_S8_S8_bb,comdat
	.globl	_ZN9rocsparseL35csrgemm_symbolic_fill_block_per_rowILj1024ELj64ELj4096ELj137ELj32EliEEvT5_PKS1_S3_PKT4_S3_S6_S3_S6_S3_S6_PS1_21rocsparse_index_base_S8_S8_S8_bb ; -- Begin function _ZN9rocsparseL35csrgemm_symbolic_fill_block_per_rowILj1024ELj64ELj4096ELj137ELj32EliEEvT5_PKS1_S3_PKT4_S3_S6_S3_S6_S3_S6_PS1_21rocsparse_index_base_S8_S8_S8_bb
	.p2align	8
	.type	_ZN9rocsparseL35csrgemm_symbolic_fill_block_per_rowILj1024ELj64ELj4096ELj137ELj32EliEEvT5_PKS1_S3_PKT4_S3_S6_S3_S6_S3_S6_PS1_21rocsparse_index_base_S8_S8_S8_bb,@function
_ZN9rocsparseL35csrgemm_symbolic_fill_block_per_rowILj1024ELj64ELj4096ELj137ELj32EliEEvT5_PKS1_S3_PKT4_S3_S6_S3_S6_S3_S6_PS1_21rocsparse_index_base_S8_S8_S8_bb: ; @_ZN9rocsparseL35csrgemm_symbolic_fill_block_per_rowILj1024ELj64ELj4096ELj137ELj32EliEEvT5_PKS1_S3_PKT4_S3_S6_S3_S6_S3_S6_PS1_21rocsparse_index_base_S8_S8_S8_bb
; %bb.0:
	s_load_dwordx4 s[68:71], s[4:5], 0x48
	s_load_dwordx8 s[8:15], s[4:5], 0x28
	s_load_dword s33, s[4:5], 0x0
	s_load_dwordx8 s[16:23], s[4:5], 0x8
	v_or_b32_e32 v7, 0xfffffc00, v0
	v_lshl_add_u32 v8, v0, 2, 0
	s_mov_b64 s[0:1], 0
	s_waitcnt lgkmcnt(0)
	v_mov_b32_e32 v1, s33
	s_movk_i32 s2, 0xbff
	v_mov_b32_e32 v2, v8
	v_mov_b32_e32 v3, v7
.LBB36_1:                               ; =>This Inner Loop Header: Depth=1
	v_add_u32_e32 v3, 0x400, v3
	v_cmp_lt_u32_e32 vcc, s2, v3
	ds_write_b32 v2, v1
	s_or_b64 s[0:1], vcc, s[0:1]
	v_add_u32_e32 v2, 0x1000, v2
	s_andn2_b64 exec, exec, s[0:1]
	s_cbranch_execnz .LBB36_1
; %bb.2:
	s_or_b64 exec, exec, s[0:1]
	s_load_dword s30, s[4:5], 0x68
	s_waitcnt lgkmcnt(0)
	s_barrier
	s_load_dword s2, s[16:17], 0x0
	s_load_dwordx4 s[64:67], s[4:5], 0x58
	s_bitcmp1_b32 s30, 0
	s_cselect_b64 s[0:1], -1, 0
	s_mov_b32 s3, 0
	s_waitcnt lgkmcnt(0)
	s_add_i32 s2, s2, s6
	s_lshl_b64 s[2:3], s[2:3], 2
	s_add_u32 s2, s18, s2
	s_addc_u32 s3, s19, s3
	s_load_dword s72, s[2:3], 0x0
	s_and_b64 vcc, exec, s[0:1]
	s_cbranch_vccz .LBB36_18
; %bb.3:
	s_waitcnt lgkmcnt(0)
	s_ashr_i32 s73, s72, 31
	s_lshl_b64 s[0:1], s[72:73], 3
	s_add_u32 s0, s20, s0
	s_addc_u32 s1, s21, s1
	s_load_dwordx4 s[4:7], s[0:1], 0x0
	v_lshrrev_b32_e32 v1, 6, v0
	v_subrev_co_u32_e32 v1, vcc, s64, v1
	v_subb_co_u32_e64 v2, s[2:3], 0, 0, vcc
	s_waitcnt lgkmcnt(0)
	s_sub_u32 s0, s6, s64
	v_mov_b32_e32 v3, s5
	v_add_co_u32_e32 v1, vcc, s4, v1
	s_subb_u32 s1, s7, 0
	v_addc_co_u32_e32 v2, vcc, v3, v2, vcc
	v_cmp_gt_i64_e32 vcc, s[0:1], v[1:2]
	s_and_saveexec_b64 s[2:3], vcc
	s_cbranch_execz .LBB36_17
; %bb.4:
	v_and_b32_e32 v3, 63, v0
	v_subrev_co_u32_e32 v9, vcc, s65, v3
	v_subb_co_u32_e64 v10, s[4:5], 0, 0, vcc
	s_mov_b32 s31, s65
	s_mov_b64 s[4:5], 0
	v_mov_b32_e32 v11, s23
	v_mov_b32_e32 v12, s9
	s_movk_i32 s9, 0x89
	s_branch .LBB36_6
.LBB36_5:                               ;   in Loop: Header=BB36_6 Depth=1
	s_or_b64 exec, exec, s[6:7]
	v_add_co_u32_e32 v1, vcc, 16, v1
	v_addc_co_u32_e32 v2, vcc, 0, v2, vcc
	v_cmp_le_i64_e32 vcc, s[0:1], v[1:2]
	s_or_b64 s[4:5], vcc, s[4:5]
	s_andn2_b64 exec, exec, s[4:5]
	s_cbranch_execz .LBB36_17
.LBB36_6:                               ; =>This Loop Header: Depth=1
                                        ;     Child Loop BB36_9 Depth 2
                                        ;       Child Loop BB36_12 Depth 3
	v_lshlrev_b64 v[3:4], 2, v[1:2]
	v_add_co_u32_e32 v3, vcc, s22, v3
	v_addc_co_u32_e32 v4, vcc, v11, v4, vcc
	global_load_dword v3, v[3:4], off
	s_waitcnt vmcnt(0)
	v_subrev_u32_e32 v3, s64, v3
	v_ashrrev_i32_e32 v4, 31, v3
	v_lshlrev_b64 v[3:4], 3, v[3:4]
	v_add_co_u32_e32 v3, vcc, s8, v3
	v_addc_co_u32_e32 v4, vcc, v12, v4, vcc
	global_load_dwordx4 v[13:16], v[3:4], off
	s_waitcnt vmcnt(0)
	v_subrev_co_u32_e32 v3, vcc, s31, v15
	v_subbrev_co_u32_e32 v4, vcc, 0, v16, vcc
	v_add_co_u32_e32 v5, vcc, v13, v9
	v_addc_co_u32_e32 v6, vcc, v14, v10, vcc
	v_cmp_lt_i64_e32 vcc, v[5:6], v[3:4]
	s_and_saveexec_b64 s[6:7], vcc
	s_cbranch_execz .LBB36_5
; %bb.7:                                ;   in Loop: Header=BB36_6 Depth=1
	s_mov_b64 s[16:17], 0
	s_branch .LBB36_9
.LBB36_8:                               ;   in Loop: Header=BB36_9 Depth=2
	s_or_b64 exec, exec, s[18:19]
	v_add_co_u32_e32 v5, vcc, 64, v5
	v_addc_co_u32_e32 v6, vcc, 0, v6, vcc
	v_cmp_ge_i64_e32 vcc, v[5:6], v[3:4]
	s_or_b64 s[16:17], vcc, s[16:17]
	s_andn2_b64 exec, exec, s[16:17]
	s_cbranch_execz .LBB36_5
.LBB36_9:                               ;   Parent Loop BB36_6 Depth=1
                                        ; =>  This Loop Header: Depth=2
                                        ;       Child Loop BB36_12 Depth 3
	v_lshlrev_b64 v[13:14], 2, v[5:6]
	v_mov_b32_e32 v15, s11
	v_add_co_u32_e32 v13, vcc, s10, v13
	v_addc_co_u32_e32 v14, vcc, v15, v14, vcc
	global_load_dword v13, v[13:14], off
	s_mov_b64 s[18:19], 0
                                        ; implicit-def: $sgpr20_sgpr21
	s_waitcnt vmcnt(0)
	v_subrev_u32_e32 v13, s65, v13
	v_mul_lo_u32 v14, v13, s9
	v_and_b32_e32 v14, 0xfff, v14
	s_branch .LBB36_12
.LBB36_10:                              ;   in Loop: Header=BB36_12 Depth=3
	s_or_b64 exec, exec, s[26:27]
	s_andn2_b64 s[20:21], s[20:21], exec
	s_and_b64 s[26:27], s[28:29], exec
	s_or_b64 s[20:21], s[20:21], s[26:27]
.LBB36_11:                              ;   in Loop: Header=BB36_12 Depth=3
	s_or_b64 exec, exec, s[24:25]
	s_xor_b64 s[24:25], s[20:21], -1
	s_and_b64 s[24:25], exec, s[24:25]
	s_or_b64 s[18:19], s[24:25], s[18:19]
	s_andn2_b64 exec, exec, s[18:19]
	s_cbranch_execz .LBB36_8
.LBB36_12:                              ;   Parent Loop BB36_6 Depth=1
                                        ;     Parent Loop BB36_9 Depth=2
                                        ; =>    This Inner Loop Header: Depth=3
	v_lshl_add_u32 v15, v14, 2, 0
	ds_read_b32 v16, v15
	s_andn2_b64 s[20:21], s[20:21], exec
	s_waitcnt lgkmcnt(0)
	v_cmp_ne_u32_e32 vcc, v16, v13
	s_and_saveexec_b64 s[24:25], vcc
	s_cbranch_execz .LBB36_11
; %bb.13:                               ;   in Loop: Header=BB36_12 Depth=3
	v_cmp_ne_u32_e32 vcc, s33, v16
	s_and_saveexec_b64 s[26:27], vcc
	s_xor_b64 s[26:27], exec, s[26:27]
; %bb.14:                               ;   in Loop: Header=BB36_12 Depth=3
	v_add_u32_e32 v14, 1, v14
	v_and_b32_e32 v14, 0xfff, v14
                                        ; implicit-def: $vgpr15
; %bb.15:                               ;   in Loop: Header=BB36_12 Depth=3
	s_or_saveexec_b64 s[26:27], s[26:27]
	s_mov_b64 s[28:29], -1
	s_xor_b64 exec, exec, s[26:27]
	s_cbranch_execz .LBB36_10
; %bb.16:                               ;   in Loop: Header=BB36_12 Depth=3
	v_mov_b32_e32 v16, s33
	ds_cmpst_rtn_b32 v15, v15, v16, v13
	s_waitcnt lgkmcnt(0)
	v_cmp_ne_u32_e32 vcc, s33, v15
	s_orn2_b64 s[28:29], vcc, exec
	s_branch .LBB36_10
.LBB36_17:
	s_or_b64 exec, exec, s[2:3]
.LBB36_18:
	s_bfe_u32 s0, s30, 0x10008
	s_cmp_eq_u32 s0, 0
	s_cbranch_scc1 .LBB36_31
; %bb.19:
	s_waitcnt lgkmcnt(0)
	s_ashr_i32 s73, s72, 31
	s_lshl_b64 s[0:1], s[72:73], 3
	s_add_u32 s0, s12, s0
	s_addc_u32 s1, s13, s1
	s_load_dwordx4 s[4:7], s[0:1], 0x0
	v_subrev_co_u32_e32 v1, vcc, s67, v0
	v_subb_co_u32_e64 v2, s[0:1], 0, 0, vcc
	s_waitcnt lgkmcnt(0)
	s_sub_u32 s0, s6, s67
	v_mov_b32_e32 v3, s5
	v_add_co_u32_e32 v1, vcc, s4, v1
	s_subb_u32 s1, s7, 0
	v_addc_co_u32_e32 v2, vcc, v3, v2, vcc
	v_cmp_gt_i64_e32 vcc, s[0:1], v[1:2]
	s_and_saveexec_b64 s[2:3], vcc
	s_cbranch_execz .LBB36_30
; %bb.20:
	s_mov_b64 s[4:5], 0
	v_mov_b32_e32 v3, s15
	s_movk_i32 s15, 0x89
	s_branch .LBB36_22
.LBB36_21:                              ;   in Loop: Header=BB36_22 Depth=1
	s_or_b64 exec, exec, s[6:7]
	v_add_co_u32_e32 v1, vcc, 0x400, v1
	v_addc_co_u32_e32 v2, vcc, 0, v2, vcc
	v_cmp_le_i64_e32 vcc, s[0:1], v[1:2]
	s_or_b64 s[4:5], vcc, s[4:5]
	s_andn2_b64 exec, exec, s[4:5]
	s_cbranch_execz .LBB36_30
.LBB36_22:                              ; =>This Loop Header: Depth=1
                                        ;     Child Loop BB36_25 Depth 2
	v_lshlrev_b64 v[4:5], 2, v[1:2]
	s_mov_b64 s[6:7], 0
	v_add_co_u32_e32 v4, vcc, s14, v4
	v_addc_co_u32_e32 v5, vcc, v3, v5, vcc
	global_load_dword v4, v[4:5], off
                                        ; implicit-def: $sgpr8_sgpr9
	s_waitcnt vmcnt(0)
	v_subrev_u32_e32 v4, s67, v4
	v_mul_lo_u32 v5, v4, s15
	v_and_b32_e32 v5, 0xfff, v5
	s_branch .LBB36_25
.LBB36_23:                              ;   in Loop: Header=BB36_25 Depth=2
	s_or_b64 exec, exec, s[12:13]
	s_andn2_b64 s[8:9], s[8:9], exec
	s_and_b64 s[12:13], s[16:17], exec
	s_or_b64 s[8:9], s[8:9], s[12:13]
.LBB36_24:                              ;   in Loop: Header=BB36_25 Depth=2
	s_or_b64 exec, exec, s[10:11]
	s_xor_b64 s[10:11], s[8:9], -1
	s_and_b64 s[10:11], exec, s[10:11]
	s_or_b64 s[6:7], s[10:11], s[6:7]
	s_andn2_b64 exec, exec, s[6:7]
	s_cbranch_execz .LBB36_21
.LBB36_25:                              ;   Parent Loop BB36_22 Depth=1
                                        ; =>  This Inner Loop Header: Depth=2
	v_lshl_add_u32 v6, v5, 2, 0
	ds_read_b32 v9, v6
	s_andn2_b64 s[8:9], s[8:9], exec
	s_waitcnt lgkmcnt(0)
	v_cmp_ne_u32_e32 vcc, v9, v4
	s_and_saveexec_b64 s[10:11], vcc
	s_cbranch_execz .LBB36_24
; %bb.26:                               ;   in Loop: Header=BB36_25 Depth=2
	v_cmp_ne_u32_e32 vcc, s33, v9
	s_and_saveexec_b64 s[12:13], vcc
	s_xor_b64 s[12:13], exec, s[12:13]
; %bb.27:                               ;   in Loop: Header=BB36_25 Depth=2
	v_add_u32_e32 v5, 1, v5
	v_and_b32_e32 v5, 0xfff, v5
                                        ; implicit-def: $vgpr6
; %bb.28:                               ;   in Loop: Header=BB36_25 Depth=2
	s_or_saveexec_b64 s[12:13], s[12:13]
	s_mov_b64 s[16:17], -1
	s_xor_b64 exec, exec, s[12:13]
	s_cbranch_execz .LBB36_23
; %bb.29:                               ;   in Loop: Header=BB36_25 Depth=2
	v_mov_b32_e32 v9, s33
	ds_cmpst_rtn_b32 v6, v6, v9, v4
	s_waitcnt lgkmcnt(0)
	v_cmp_ne_u32_e32 vcc, s33, v6
	s_orn2_b64 s[16:17], vcc, exec
	s_branch .LBB36_23
.LBB36_30:
	s_or_b64 exec, exec, s[2:3]
.LBB36_31:
	v_mbcnt_lo_u32_b32 v1, -1, 0
	v_mbcnt_hi_u32_b32 v1, -1, v1
	v_sub_u32_e32 v1, 63, v1
	v_lshrrev_b32_e32 v4, 3, v0
	s_movk_i32 s0, 0x3ff
	v_lshrrev_b64 v[1:2], v1, -1
	v_and_b32_e32 v4, 0x7c, v4
	v_cmp_eq_u32_e32 vcc, s0, v0
	s_movk_i32 s0, 0x5f
	s_movk_i32 s2, 0x7f
	;; [unrolled: 1-line block ×29, first 2 shown]
	v_mov_b32_e32 v3, 0
	v_add_u32_e32 v4, 0, v4
	v_cmp_lt_u32_e64 s[0:1], s0, v0
	v_cmp_lt_u32_e64 s[2:3], s2, v0
	;; [unrolled: 1-line block ×29, first 2 shown]
	v_mov_b32_e32 v5, 0
	s_movk_i32 s67, 0xbff
	v_cmp_lt_u32_e64 s[60:61], 31, v0
	v_cmp_lt_u32_e64 s[62:63], 63, v0
	s_mov_b64 s[74:75], 0
	s_waitcnt lgkmcnt(0)
	s_barrier
	s_branch .LBB36_33
.LBB36_32:                              ;   in Loop: Header=BB36_33 Depth=1
	s_or_b64 exec, exec, s[64:65]
	s_waitcnt lgkmcnt(0)
	s_barrier
	ds_read_b32 v6, v3 offset:16508
	v_add_u32_e32 v7, 0x400, v7
	v_cmp_lt_u32_e64 s[64:65], s67, v7
	s_or_b64 s[74:75], s[64:65], s[74:75]
	v_add_u32_e32 v8, 0x1000, v8
	s_waitcnt lgkmcnt(0)
	v_add_u32_e32 v5, v6, v5
	s_andn2_b64 exec, exec, s[74:75]
	s_cbranch_execz .LBB36_99
.LBB36_33:                              ; =>This Inner Loop Header: Depth=1
	ds_read_b32 v6, v8
	s_waitcnt lgkmcnt(0)
	s_barrier
	v_cmp_gt_i32_e64 s[64:65], s33, v6
	v_and_b32_e32 v10, s64, v1
	s_bcnt1_i32_b64 s73, s[64:65]
	v_and_b32_e32 v9, s65, v2
	v_bcnt_u32_b32 v10, v10, 0
	v_bcnt_u32_b32 v9, v9, v10
	v_mov_b32_e32 v10, s73
	ds_write_b32 v4, v10 offset:16384
	s_waitcnt lgkmcnt(0)
	s_barrier
	s_and_saveexec_b64 s[76:77], s[60:61]
	s_cbranch_execnz .LBB36_66
; %bb.34:                               ;   in Loop: Header=BB36_33 Depth=1
	s_or_b64 exec, exec, s[76:77]
	s_and_saveexec_b64 s[76:77], s[62:63]
	s_cbranch_execnz .LBB36_67
.LBB36_35:                              ;   in Loop: Header=BB36_33 Depth=1
	s_or_b64 exec, exec, s[76:77]
	s_and_saveexec_b64 s[76:77], s[0:1]
	s_cbranch_execnz .LBB36_68
.LBB36_36:                              ;   in Loop: Header=BB36_33 Depth=1
	s_or_b64 exec, exec, s[76:77]
	s_and_saveexec_b64 s[76:77], s[2:3]
	s_cbranch_execnz .LBB36_69
.LBB36_37:                              ;   in Loop: Header=BB36_33 Depth=1
	s_or_b64 exec, exec, s[76:77]
	s_and_saveexec_b64 s[76:77], s[4:5]
	s_cbranch_execnz .LBB36_70
.LBB36_38:                              ;   in Loop: Header=BB36_33 Depth=1
	s_or_b64 exec, exec, s[76:77]
	s_and_saveexec_b64 s[76:77], s[6:7]
	s_cbranch_execnz .LBB36_71
.LBB36_39:                              ;   in Loop: Header=BB36_33 Depth=1
	s_or_b64 exec, exec, s[76:77]
	s_and_saveexec_b64 s[76:77], s[8:9]
	s_cbranch_execnz .LBB36_72
.LBB36_40:                              ;   in Loop: Header=BB36_33 Depth=1
	s_or_b64 exec, exec, s[76:77]
	s_and_saveexec_b64 s[76:77], s[10:11]
	s_cbranch_execnz .LBB36_73
.LBB36_41:                              ;   in Loop: Header=BB36_33 Depth=1
	s_or_b64 exec, exec, s[76:77]
	s_and_saveexec_b64 s[76:77], s[12:13]
	s_cbranch_execnz .LBB36_74
.LBB36_42:                              ;   in Loop: Header=BB36_33 Depth=1
	s_or_b64 exec, exec, s[76:77]
	s_and_saveexec_b64 s[76:77], s[14:15]
	s_cbranch_execnz .LBB36_75
.LBB36_43:                              ;   in Loop: Header=BB36_33 Depth=1
	s_or_b64 exec, exec, s[76:77]
	s_and_saveexec_b64 s[76:77], s[16:17]
	s_cbranch_execnz .LBB36_76
.LBB36_44:                              ;   in Loop: Header=BB36_33 Depth=1
	s_or_b64 exec, exec, s[76:77]
	s_and_saveexec_b64 s[76:77], s[18:19]
	s_cbranch_execnz .LBB36_77
.LBB36_45:                              ;   in Loop: Header=BB36_33 Depth=1
	s_or_b64 exec, exec, s[76:77]
	s_and_saveexec_b64 s[76:77], s[20:21]
	s_cbranch_execnz .LBB36_78
.LBB36_46:                              ;   in Loop: Header=BB36_33 Depth=1
	s_or_b64 exec, exec, s[76:77]
	s_and_saveexec_b64 s[76:77], s[22:23]
	s_cbranch_execnz .LBB36_79
.LBB36_47:                              ;   in Loop: Header=BB36_33 Depth=1
	s_or_b64 exec, exec, s[76:77]
	s_and_saveexec_b64 s[76:77], s[24:25]
	s_cbranch_execnz .LBB36_80
.LBB36_48:                              ;   in Loop: Header=BB36_33 Depth=1
	s_or_b64 exec, exec, s[76:77]
	s_and_saveexec_b64 s[76:77], s[26:27]
	s_cbranch_execnz .LBB36_81
.LBB36_49:                              ;   in Loop: Header=BB36_33 Depth=1
	s_or_b64 exec, exec, s[76:77]
	s_and_saveexec_b64 s[76:77], s[28:29]
	s_cbranch_execnz .LBB36_82
.LBB36_50:                              ;   in Loop: Header=BB36_33 Depth=1
	s_or_b64 exec, exec, s[76:77]
	s_and_saveexec_b64 s[76:77], s[30:31]
	s_cbranch_execnz .LBB36_83
.LBB36_51:                              ;   in Loop: Header=BB36_33 Depth=1
	s_or_b64 exec, exec, s[76:77]
	s_and_saveexec_b64 s[76:77], s[34:35]
	s_cbranch_execnz .LBB36_84
.LBB36_52:                              ;   in Loop: Header=BB36_33 Depth=1
	s_or_b64 exec, exec, s[76:77]
	s_and_saveexec_b64 s[76:77], s[36:37]
	s_cbranch_execnz .LBB36_85
.LBB36_53:                              ;   in Loop: Header=BB36_33 Depth=1
	s_or_b64 exec, exec, s[76:77]
	s_and_saveexec_b64 s[76:77], s[38:39]
	s_cbranch_execnz .LBB36_86
.LBB36_54:                              ;   in Loop: Header=BB36_33 Depth=1
	s_or_b64 exec, exec, s[76:77]
	s_and_saveexec_b64 s[76:77], s[40:41]
	s_cbranch_execnz .LBB36_87
.LBB36_55:                              ;   in Loop: Header=BB36_33 Depth=1
	s_or_b64 exec, exec, s[76:77]
	s_and_saveexec_b64 s[76:77], s[42:43]
	s_cbranch_execnz .LBB36_88
.LBB36_56:                              ;   in Loop: Header=BB36_33 Depth=1
	s_or_b64 exec, exec, s[76:77]
	s_and_saveexec_b64 s[76:77], s[44:45]
	s_cbranch_execnz .LBB36_89
.LBB36_57:                              ;   in Loop: Header=BB36_33 Depth=1
	s_or_b64 exec, exec, s[76:77]
	s_and_saveexec_b64 s[76:77], s[46:47]
	s_cbranch_execnz .LBB36_90
.LBB36_58:                              ;   in Loop: Header=BB36_33 Depth=1
	s_or_b64 exec, exec, s[76:77]
	s_and_saveexec_b64 s[76:77], s[48:49]
	s_cbranch_execnz .LBB36_91
.LBB36_59:                              ;   in Loop: Header=BB36_33 Depth=1
	s_or_b64 exec, exec, s[76:77]
	s_and_saveexec_b64 s[76:77], s[50:51]
	s_cbranch_execnz .LBB36_92
.LBB36_60:                              ;   in Loop: Header=BB36_33 Depth=1
	s_or_b64 exec, exec, s[76:77]
	s_and_saveexec_b64 s[76:77], s[52:53]
	s_cbranch_execnz .LBB36_93
.LBB36_61:                              ;   in Loop: Header=BB36_33 Depth=1
	s_or_b64 exec, exec, s[76:77]
	s_and_saveexec_b64 s[76:77], s[54:55]
	s_cbranch_execnz .LBB36_94
.LBB36_62:                              ;   in Loop: Header=BB36_33 Depth=1
	s_or_b64 exec, exec, s[76:77]
	s_and_saveexec_b64 s[76:77], s[56:57]
	s_cbranch_execnz .LBB36_95
.LBB36_63:                              ;   in Loop: Header=BB36_33 Depth=1
	s_or_b64 exec, exec, s[76:77]
	s_and_saveexec_b64 s[76:77], s[58:59]
	s_cbranch_execnz .LBB36_96
.LBB36_64:                              ;   in Loop: Header=BB36_33 Depth=1
	s_or_b64 exec, exec, s[76:77]
	s_and_saveexec_b64 s[76:77], s[64:65]
	s_cbranch_execnz .LBB36_97
.LBB36_65:                              ;   in Loop: Header=BB36_33 Depth=1
	s_or_b64 exec, exec, s[76:77]
	s_and_saveexec_b64 s[64:65], vcc
	s_cbranch_execz .LBB36_32
	s_branch .LBB36_98
.LBB36_66:                              ;   in Loop: Header=BB36_33 Depth=1
	ds_read_b32 v10, v3 offset:16384
	s_waitcnt lgkmcnt(0)
	v_add_u32_e32 v9, v10, v9
	s_or_b64 exec, exec, s[76:77]
	s_and_saveexec_b64 s[76:77], s[62:63]
	s_cbranch_execz .LBB36_35
.LBB36_67:                              ;   in Loop: Header=BB36_33 Depth=1
	ds_read_b32 v10, v3 offset:16388
	s_waitcnt lgkmcnt(0)
	v_add_u32_e32 v9, v10, v9
	s_or_b64 exec, exec, s[76:77]
	s_and_saveexec_b64 s[76:77], s[0:1]
	s_cbranch_execz .LBB36_36
.LBB36_68:                              ;   in Loop: Header=BB36_33 Depth=1
	ds_read_b32 v10, v3 offset:16392
	s_waitcnt lgkmcnt(0)
	v_add_u32_e32 v9, v10, v9
	s_or_b64 exec, exec, s[76:77]
	s_and_saveexec_b64 s[76:77], s[2:3]
	s_cbranch_execz .LBB36_37
.LBB36_69:                              ;   in Loop: Header=BB36_33 Depth=1
	ds_read_b32 v10, v3 offset:16396
	s_waitcnt lgkmcnt(0)
	v_add_u32_e32 v9, v10, v9
	s_or_b64 exec, exec, s[76:77]
	s_and_saveexec_b64 s[76:77], s[4:5]
	s_cbranch_execz .LBB36_38
.LBB36_70:                              ;   in Loop: Header=BB36_33 Depth=1
	ds_read_b32 v10, v3 offset:16400
	s_waitcnt lgkmcnt(0)
	v_add_u32_e32 v9, v10, v9
	s_or_b64 exec, exec, s[76:77]
	s_and_saveexec_b64 s[76:77], s[6:7]
	s_cbranch_execz .LBB36_39
.LBB36_71:                              ;   in Loop: Header=BB36_33 Depth=1
	ds_read_b32 v10, v3 offset:16404
	s_waitcnt lgkmcnt(0)
	v_add_u32_e32 v9, v10, v9
	s_or_b64 exec, exec, s[76:77]
	s_and_saveexec_b64 s[76:77], s[8:9]
	s_cbranch_execz .LBB36_40
.LBB36_72:                              ;   in Loop: Header=BB36_33 Depth=1
	ds_read_b32 v10, v3 offset:16408
	s_waitcnt lgkmcnt(0)
	v_add_u32_e32 v9, v10, v9
	s_or_b64 exec, exec, s[76:77]
	s_and_saveexec_b64 s[76:77], s[10:11]
	s_cbranch_execz .LBB36_41
.LBB36_73:                              ;   in Loop: Header=BB36_33 Depth=1
	ds_read_b32 v10, v3 offset:16412
	s_waitcnt lgkmcnt(0)
	v_add_u32_e32 v9, v10, v9
	s_or_b64 exec, exec, s[76:77]
	s_and_saveexec_b64 s[76:77], s[12:13]
	s_cbranch_execz .LBB36_42
.LBB36_74:                              ;   in Loop: Header=BB36_33 Depth=1
	ds_read_b32 v10, v3 offset:16416
	s_waitcnt lgkmcnt(0)
	v_add_u32_e32 v9, v10, v9
	s_or_b64 exec, exec, s[76:77]
	s_and_saveexec_b64 s[76:77], s[14:15]
	s_cbranch_execz .LBB36_43
.LBB36_75:                              ;   in Loop: Header=BB36_33 Depth=1
	ds_read_b32 v10, v3 offset:16420
	s_waitcnt lgkmcnt(0)
	v_add_u32_e32 v9, v10, v9
	s_or_b64 exec, exec, s[76:77]
	s_and_saveexec_b64 s[76:77], s[16:17]
	s_cbranch_execz .LBB36_44
.LBB36_76:                              ;   in Loop: Header=BB36_33 Depth=1
	ds_read_b32 v10, v3 offset:16424
	s_waitcnt lgkmcnt(0)
	v_add_u32_e32 v9, v10, v9
	s_or_b64 exec, exec, s[76:77]
	s_and_saveexec_b64 s[76:77], s[18:19]
	s_cbranch_execz .LBB36_45
.LBB36_77:                              ;   in Loop: Header=BB36_33 Depth=1
	ds_read_b32 v10, v3 offset:16428
	s_waitcnt lgkmcnt(0)
	v_add_u32_e32 v9, v10, v9
	s_or_b64 exec, exec, s[76:77]
	s_and_saveexec_b64 s[76:77], s[20:21]
	s_cbranch_execz .LBB36_46
.LBB36_78:                              ;   in Loop: Header=BB36_33 Depth=1
	ds_read_b32 v10, v3 offset:16432
	s_waitcnt lgkmcnt(0)
	v_add_u32_e32 v9, v10, v9
	s_or_b64 exec, exec, s[76:77]
	s_and_saveexec_b64 s[76:77], s[22:23]
	s_cbranch_execz .LBB36_47
.LBB36_79:                              ;   in Loop: Header=BB36_33 Depth=1
	ds_read_b32 v10, v3 offset:16436
	s_waitcnt lgkmcnt(0)
	v_add_u32_e32 v9, v10, v9
	s_or_b64 exec, exec, s[76:77]
	s_and_saveexec_b64 s[76:77], s[24:25]
	s_cbranch_execz .LBB36_48
.LBB36_80:                              ;   in Loop: Header=BB36_33 Depth=1
	ds_read_b32 v10, v3 offset:16440
	s_waitcnt lgkmcnt(0)
	v_add_u32_e32 v9, v10, v9
	s_or_b64 exec, exec, s[76:77]
	s_and_saveexec_b64 s[76:77], s[26:27]
	s_cbranch_execz .LBB36_49
.LBB36_81:                              ;   in Loop: Header=BB36_33 Depth=1
	ds_read_b32 v10, v3 offset:16444
	s_waitcnt lgkmcnt(0)
	v_add_u32_e32 v9, v10, v9
	s_or_b64 exec, exec, s[76:77]
	s_and_saveexec_b64 s[76:77], s[28:29]
	s_cbranch_execz .LBB36_50
.LBB36_82:                              ;   in Loop: Header=BB36_33 Depth=1
	ds_read_b32 v10, v3 offset:16448
	s_waitcnt lgkmcnt(0)
	v_add_u32_e32 v9, v10, v9
	s_or_b64 exec, exec, s[76:77]
	s_and_saveexec_b64 s[76:77], s[30:31]
	s_cbranch_execz .LBB36_51
.LBB36_83:                              ;   in Loop: Header=BB36_33 Depth=1
	ds_read_b32 v10, v3 offset:16452
	s_waitcnt lgkmcnt(0)
	v_add_u32_e32 v9, v10, v9
	s_or_b64 exec, exec, s[76:77]
	s_and_saveexec_b64 s[76:77], s[34:35]
	s_cbranch_execz .LBB36_52
.LBB36_84:                              ;   in Loop: Header=BB36_33 Depth=1
	ds_read_b32 v10, v3 offset:16456
	s_waitcnt lgkmcnt(0)
	v_add_u32_e32 v9, v10, v9
	s_or_b64 exec, exec, s[76:77]
	s_and_saveexec_b64 s[76:77], s[36:37]
	s_cbranch_execz .LBB36_53
.LBB36_85:                              ;   in Loop: Header=BB36_33 Depth=1
	ds_read_b32 v10, v3 offset:16460
	s_waitcnt lgkmcnt(0)
	v_add_u32_e32 v9, v10, v9
	s_or_b64 exec, exec, s[76:77]
	s_and_saveexec_b64 s[76:77], s[38:39]
	s_cbranch_execz .LBB36_54
.LBB36_86:                              ;   in Loop: Header=BB36_33 Depth=1
	ds_read_b32 v10, v3 offset:16464
	s_waitcnt lgkmcnt(0)
	v_add_u32_e32 v9, v10, v9
	s_or_b64 exec, exec, s[76:77]
	s_and_saveexec_b64 s[76:77], s[40:41]
	s_cbranch_execz .LBB36_55
.LBB36_87:                              ;   in Loop: Header=BB36_33 Depth=1
	ds_read_b32 v10, v3 offset:16468
	s_waitcnt lgkmcnt(0)
	v_add_u32_e32 v9, v10, v9
	s_or_b64 exec, exec, s[76:77]
	s_and_saveexec_b64 s[76:77], s[42:43]
	s_cbranch_execz .LBB36_56
.LBB36_88:                              ;   in Loop: Header=BB36_33 Depth=1
	ds_read_b32 v10, v3 offset:16472
	s_waitcnt lgkmcnt(0)
	v_add_u32_e32 v9, v10, v9
	s_or_b64 exec, exec, s[76:77]
	s_and_saveexec_b64 s[76:77], s[44:45]
	s_cbranch_execz .LBB36_57
.LBB36_89:                              ;   in Loop: Header=BB36_33 Depth=1
	ds_read_b32 v10, v3 offset:16476
	s_waitcnt lgkmcnt(0)
	v_add_u32_e32 v9, v10, v9
	s_or_b64 exec, exec, s[76:77]
	s_and_saveexec_b64 s[76:77], s[46:47]
	s_cbranch_execz .LBB36_58
.LBB36_90:                              ;   in Loop: Header=BB36_33 Depth=1
	ds_read_b32 v10, v3 offset:16480
	s_waitcnt lgkmcnt(0)
	v_add_u32_e32 v9, v10, v9
	s_or_b64 exec, exec, s[76:77]
	s_and_saveexec_b64 s[76:77], s[48:49]
	s_cbranch_execz .LBB36_59
.LBB36_91:                              ;   in Loop: Header=BB36_33 Depth=1
	ds_read_b32 v10, v3 offset:16484
	s_waitcnt lgkmcnt(0)
	v_add_u32_e32 v9, v10, v9
	s_or_b64 exec, exec, s[76:77]
	s_and_saveexec_b64 s[76:77], s[50:51]
	s_cbranch_execz .LBB36_60
.LBB36_92:                              ;   in Loop: Header=BB36_33 Depth=1
	ds_read_b32 v10, v3 offset:16488
	s_waitcnt lgkmcnt(0)
	v_add_u32_e32 v9, v10, v9
	s_or_b64 exec, exec, s[76:77]
	s_and_saveexec_b64 s[76:77], s[52:53]
	s_cbranch_execz .LBB36_61
.LBB36_93:                              ;   in Loop: Header=BB36_33 Depth=1
	ds_read_b32 v10, v3 offset:16492
	s_waitcnt lgkmcnt(0)
	v_add_u32_e32 v9, v10, v9
	s_or_b64 exec, exec, s[76:77]
	s_and_saveexec_b64 s[76:77], s[54:55]
	s_cbranch_execz .LBB36_62
.LBB36_94:                              ;   in Loop: Header=BB36_33 Depth=1
	ds_read_b32 v10, v3 offset:16496
	s_waitcnt lgkmcnt(0)
	v_add_u32_e32 v9, v10, v9
	s_or_b64 exec, exec, s[76:77]
	s_and_saveexec_b64 s[76:77], s[56:57]
	s_cbranch_execz .LBB36_63
.LBB36_95:                              ;   in Loop: Header=BB36_33 Depth=1
	ds_read_b32 v10, v3 offset:16500
	s_waitcnt lgkmcnt(0)
	v_add_u32_e32 v9, v10, v9
	s_or_b64 exec, exec, s[76:77]
	s_and_saveexec_b64 s[76:77], s[58:59]
	s_cbranch_execz .LBB36_64
.LBB36_96:                              ;   in Loop: Header=BB36_33 Depth=1
	ds_read_b32 v10, v3 offset:16504
	s_waitcnt lgkmcnt(0)
	v_add_u32_e32 v9, v10, v9
	s_or_b64 exec, exec, s[76:77]
	s_and_saveexec_b64 s[76:77], s[64:65]
	s_cbranch_execz .LBB36_65
.LBB36_97:                              ;   in Loop: Header=BB36_33 Depth=1
	v_lshlrev_b32_e32 v10, 2, v5
	v_add_u32_e32 v10, 0, v10
	v_lshlrev_b32_e32 v11, 2, v9
	v_add3_u32 v10, v10, v11, -4
	ds_write_b32 v10, v6
	s_or_b64 exec, exec, s[76:77]
	s_and_saveexec_b64 s[64:65], vcc
	s_cbranch_execz .LBB36_32
.LBB36_98:                              ;   in Loop: Header=BB36_33 Depth=1
	ds_write_b32 v3, v9 offset:16508
	s_branch .LBB36_32
.LBB36_99:
	s_or_b64 exec, exec, s[74:75]
	s_ashr_i32 s73, s72, 31
	s_lshl_b64 s[0:1], s[72:73], 3
	s_add_u32 s4, s68, s0
	s_addc_u32 s5, s69, s1
	s_load_dwordx4 s[0:3], s[4:5], 0x0
	s_waitcnt lgkmcnt(0)
	s_sub_i32 s8, s2, s0
	v_cmp_gt_i32_e32 vcc, s8, v0
	s_and_saveexec_b64 s[4:5], vcc
	s_cbranch_execz .LBB36_109
; %bb.100:
	s_sub_u32 s4, s0, s66
	s_subb_u32 s5, s1, 0
	s_and_b32 s9, s8, 7
	s_sub_i32 s0, s0, s2
	s_cmp_lt_u32 s0, -7
	s_cselect_b64 s[0:1], -1, 0
	s_and_b32 s10, s8, -8
	s_cmp_lg_u32 s9, 0
	v_cndmask_b32_e64 v1, 0, 1, s[0:1]
	s_mov_b64 s[2:3], 0
	s_cselect_b64 s[6:7], -1, 0
	v_cmp_ne_u32_e64 s[0:1], 1, v1
	s_branch .LBB36_102
.LBB36_101:                             ;   in Loop: Header=BB36_102 Depth=1
	v_lshlrev_b64 v[1:2], 2, v[1:2]
	v_mov_b32_e32 v4, s71
	v_add_co_u32_e32 v1, vcc, s70, v1
	v_addc_co_u32_e32 v2, vcc, v4, v2, vcc
	v_add_u32_e32 v0, 0x400, v0
	v_cmp_le_i32_e32 vcc, s8, v0
	s_waitcnt lgkmcnt(0)
	v_add_u32_e32 v3, s66, v3
	s_or_b64 s[2:3], vcc, s[2:3]
	global_store_dword v[1:2], v3, off
	s_andn2_b64 exec, exec, s[2:3]
	s_cbranch_execz .LBB36_109
.LBB36_102:                             ; =>This Loop Header: Depth=1
                                        ;     Child Loop BB36_104 Depth 2
                                        ;     Child Loop BB36_108 Depth 2
	v_lshl_add_u32 v1, v0, 2, 0
	ds_read_b32 v3, v1
	v_mov_b32_e32 v1, s4
	s_and_b64 vcc, exec, s[0:1]
	v_mov_b32_e32 v2, s5
	s_mov_b32 s11, 0
	s_cbranch_vccnz .LBB36_106
; %bb.103:                              ;   in Loop: Header=BB36_102 Depth=1
	v_mov_b32_e32 v1, s4
	s_mov_b32 s12, 0
	v_mov_b32_e32 v2, s5
.LBB36_104:                             ;   Parent Loop BB36_102 Depth=1
                                        ; =>  This Inner Loop Header: Depth=2
	v_mov_b32_e32 v10, s12
	ds_read2_b32 v[4:5], v10 offset1:1
	ds_read2_b32 v[6:7], v10 offset0:2 offset1:3
	ds_read2_b32 v[8:9], v10 offset0:4 offset1:5
	;; [unrolled: 1-line block ×3, first 2 shown]
	s_add_i32 s11, s11, 8
	s_waitcnt lgkmcnt(3)
	v_cmp_gt_i32_e32 vcc, v3, v4
	v_cndmask_b32_e64 v4, 0, 1, vcc
	v_cmp_gt_i32_e32 vcc, v3, v5
	v_cndmask_b32_e64 v5, 0, 1, vcc
	s_waitcnt lgkmcnt(2)
	v_cmp_gt_i32_e32 vcc, v3, v6
	v_cndmask_b32_e64 v6, 0, 1, vcc
	v_cmp_gt_i32_e32 vcc, v3, v7
	v_cndmask_b32_e64 v7, 0, 1, vcc
	;; [unrolled: 5-line block ×4, first 2 shown]
	v_add_co_u32_e32 v1, vcc, v1, v4
	v_addc_co_u32_e32 v2, vcc, 0, v2, vcc
	v_add_co_u32_e32 v1, vcc, v1, v5
	v_addc_co_u32_e32 v2, vcc, 0, v2, vcc
	;; [unrolled: 2-line block ×7, first 2 shown]
	s_add_i32 s12, s12, 32
	v_add_co_u32_e32 v1, vcc, v1, v11
	s_cmp_eq_u32 s10, s11
	v_addc_co_u32_e32 v2, vcc, 0, v2, vcc
	s_cbranch_scc0 .LBB36_104
; %bb.105:                              ;   in Loop: Header=BB36_102 Depth=1
	s_mov_b32 s11, s10
.LBB36_106:                             ;   in Loop: Header=BB36_102 Depth=1
	s_andn2_b64 vcc, exec, s[6:7]
	s_cbranch_vccnz .LBB36_101
; %bb.107:                              ;   in Loop: Header=BB36_102 Depth=1
	s_lshl_b32 s11, s11, 2
	s_add_i32 s11, s11, 0
	s_mov_b32 s12, s9
.LBB36_108:                             ;   Parent Loop BB36_102 Depth=1
                                        ; =>  This Inner Loop Header: Depth=2
	v_mov_b32_e32 v4, s11
	ds_read_b32 v4, v4
	s_add_i32 s11, s11, 4
	s_add_i32 s12, s12, -1
	s_cmp_lg_u32 s12, 0
	s_waitcnt lgkmcnt(0)
	v_cmp_gt_i32_e32 vcc, v3, v4
	v_cndmask_b32_e64 v4, 0, 1, vcc
	v_add_co_u32_e32 v1, vcc, v1, v4
	v_addc_co_u32_e32 v2, vcc, 0, v2, vcc
	s_cbranch_scc1 .LBB36_108
	s_branch .LBB36_101
.LBB36_109:
	s_endpgm
	.section	.rodata,"a",@progbits
	.p2align	6, 0x0
	.amdhsa_kernel _ZN9rocsparseL35csrgemm_symbolic_fill_block_per_rowILj1024ELj64ELj4096ELj137ELj32EliEEvT5_PKS1_S3_PKT4_S3_S6_S3_S6_S3_S6_PS1_21rocsparse_index_base_S8_S8_S8_bb
		.amdhsa_group_segment_fixed_size 0
		.amdhsa_private_segment_fixed_size 0
		.amdhsa_kernarg_size 108
		.amdhsa_user_sgpr_count 6
		.amdhsa_user_sgpr_private_segment_buffer 1
		.amdhsa_user_sgpr_dispatch_ptr 0
		.amdhsa_user_sgpr_queue_ptr 0
		.amdhsa_user_sgpr_kernarg_segment_ptr 1
		.amdhsa_user_sgpr_dispatch_id 0
		.amdhsa_user_sgpr_flat_scratch_init 0
		.amdhsa_user_sgpr_private_segment_size 0
		.amdhsa_uses_dynamic_stack 0
		.amdhsa_system_sgpr_private_segment_wavefront_offset 0
		.amdhsa_system_sgpr_workgroup_id_x 1
		.amdhsa_system_sgpr_workgroup_id_y 0
		.amdhsa_system_sgpr_workgroup_id_z 0
		.amdhsa_system_sgpr_workgroup_info 0
		.amdhsa_system_vgpr_workitem_id 0
		.amdhsa_next_free_vgpr 17
		.amdhsa_next_free_sgpr 78
		.amdhsa_reserve_vcc 1
		.amdhsa_reserve_flat_scratch 0
		.amdhsa_float_round_mode_32 0
		.amdhsa_float_round_mode_16_64 0
		.amdhsa_float_denorm_mode_32 3
		.amdhsa_float_denorm_mode_16_64 3
		.amdhsa_dx10_clamp 1
		.amdhsa_ieee_mode 1
		.amdhsa_fp16_overflow 0
		.amdhsa_exception_fp_ieee_invalid_op 0
		.amdhsa_exception_fp_denorm_src 0
		.amdhsa_exception_fp_ieee_div_zero 0
		.amdhsa_exception_fp_ieee_overflow 0
		.amdhsa_exception_fp_ieee_underflow 0
		.amdhsa_exception_fp_ieee_inexact 0
		.amdhsa_exception_int_div_zero 0
	.end_amdhsa_kernel
	.section	.text._ZN9rocsparseL35csrgemm_symbolic_fill_block_per_rowILj1024ELj64ELj4096ELj137ELj32EliEEvT5_PKS1_S3_PKT4_S3_S6_S3_S6_S3_S6_PS1_21rocsparse_index_base_S8_S8_S8_bb,"axG",@progbits,_ZN9rocsparseL35csrgemm_symbolic_fill_block_per_rowILj1024ELj64ELj4096ELj137ELj32EliEEvT5_PKS1_S3_PKT4_S3_S6_S3_S6_S3_S6_PS1_21rocsparse_index_base_S8_S8_S8_bb,comdat
.Lfunc_end36:
	.size	_ZN9rocsparseL35csrgemm_symbolic_fill_block_per_rowILj1024ELj64ELj4096ELj137ELj32EliEEvT5_PKS1_S3_PKT4_S3_S6_S3_S6_S3_S6_PS1_21rocsparse_index_base_S8_S8_S8_bb, .Lfunc_end36-_ZN9rocsparseL35csrgemm_symbolic_fill_block_per_rowILj1024ELj64ELj4096ELj137ELj32EliEEvT5_PKS1_S3_PKT4_S3_S6_S3_S6_S3_S6_PS1_21rocsparse_index_base_S8_S8_S8_bb
                                        ; -- End function
	.set _ZN9rocsparseL35csrgemm_symbolic_fill_block_per_rowILj1024ELj64ELj4096ELj137ELj32EliEEvT5_PKS1_S3_PKT4_S3_S6_S3_S6_S3_S6_PS1_21rocsparse_index_base_S8_S8_S8_bb.num_vgpr, 17
	.set _ZN9rocsparseL35csrgemm_symbolic_fill_block_per_rowILj1024ELj64ELj4096ELj137ELj32EliEEvT5_PKS1_S3_PKT4_S3_S6_S3_S6_S3_S6_PS1_21rocsparse_index_base_S8_S8_S8_bb.num_agpr, 0
	.set _ZN9rocsparseL35csrgemm_symbolic_fill_block_per_rowILj1024ELj64ELj4096ELj137ELj32EliEEvT5_PKS1_S3_PKT4_S3_S6_S3_S6_S3_S6_PS1_21rocsparse_index_base_S8_S8_S8_bb.numbered_sgpr, 78
	.set _ZN9rocsparseL35csrgemm_symbolic_fill_block_per_rowILj1024ELj64ELj4096ELj137ELj32EliEEvT5_PKS1_S3_PKT4_S3_S6_S3_S6_S3_S6_PS1_21rocsparse_index_base_S8_S8_S8_bb.num_named_barrier, 0
	.set _ZN9rocsparseL35csrgemm_symbolic_fill_block_per_rowILj1024ELj64ELj4096ELj137ELj32EliEEvT5_PKS1_S3_PKT4_S3_S6_S3_S6_S3_S6_PS1_21rocsparse_index_base_S8_S8_S8_bb.private_seg_size, 0
	.set _ZN9rocsparseL35csrgemm_symbolic_fill_block_per_rowILj1024ELj64ELj4096ELj137ELj32EliEEvT5_PKS1_S3_PKT4_S3_S6_S3_S6_S3_S6_PS1_21rocsparse_index_base_S8_S8_S8_bb.uses_vcc, 1
	.set _ZN9rocsparseL35csrgemm_symbolic_fill_block_per_rowILj1024ELj64ELj4096ELj137ELj32EliEEvT5_PKS1_S3_PKT4_S3_S6_S3_S6_S3_S6_PS1_21rocsparse_index_base_S8_S8_S8_bb.uses_flat_scratch, 0
	.set _ZN9rocsparseL35csrgemm_symbolic_fill_block_per_rowILj1024ELj64ELj4096ELj137ELj32EliEEvT5_PKS1_S3_PKT4_S3_S6_S3_S6_S3_S6_PS1_21rocsparse_index_base_S8_S8_S8_bb.has_dyn_sized_stack, 0
	.set _ZN9rocsparseL35csrgemm_symbolic_fill_block_per_rowILj1024ELj64ELj4096ELj137ELj32EliEEvT5_PKS1_S3_PKT4_S3_S6_S3_S6_S3_S6_PS1_21rocsparse_index_base_S8_S8_S8_bb.has_recursion, 0
	.set _ZN9rocsparseL35csrgemm_symbolic_fill_block_per_rowILj1024ELj64ELj4096ELj137ELj32EliEEvT5_PKS1_S3_PKT4_S3_S6_S3_S6_S3_S6_PS1_21rocsparse_index_base_S8_S8_S8_bb.has_indirect_call, 0
	.section	.AMDGPU.csdata,"",@progbits
; Kernel info:
; codeLenInByte = 3448
; TotalNumSgprs: 82
; NumVgprs: 17
; ScratchSize: 0
; MemoryBound: 0
; FloatMode: 240
; IeeeMode: 1
; LDSByteSize: 0 bytes/workgroup (compile time only)
; SGPRBlocks: 10
; VGPRBlocks: 4
; NumSGPRsForWavesPerEU: 82
; NumVGPRsForWavesPerEU: 17
; Occupancy: 9
; WaveLimiterHint : 1
; COMPUTE_PGM_RSRC2:SCRATCH_EN: 0
; COMPUTE_PGM_RSRC2:USER_SGPR: 6
; COMPUTE_PGM_RSRC2:TRAP_HANDLER: 0
; COMPUTE_PGM_RSRC2:TGID_X_EN: 1
; COMPUTE_PGM_RSRC2:TGID_Y_EN: 0
; COMPUTE_PGM_RSRC2:TGID_Z_EN: 0
; COMPUTE_PGM_RSRC2:TIDIG_COMP_CNT: 0
	.section	.text._ZN9rocsparseL35csrgemm_symbolic_fill_block_per_rowILj1024ELj64ELj4096ELj137ELj64EliEEvT5_PKS1_S3_PKT4_S3_S6_S3_S6_S3_S6_PS1_21rocsparse_index_base_S8_S8_S8_bb,"axG",@progbits,_ZN9rocsparseL35csrgemm_symbolic_fill_block_per_rowILj1024ELj64ELj4096ELj137ELj64EliEEvT5_PKS1_S3_PKT4_S3_S6_S3_S6_S3_S6_PS1_21rocsparse_index_base_S8_S8_S8_bb,comdat
	.globl	_ZN9rocsparseL35csrgemm_symbolic_fill_block_per_rowILj1024ELj64ELj4096ELj137ELj64EliEEvT5_PKS1_S3_PKT4_S3_S6_S3_S6_S3_S6_PS1_21rocsparse_index_base_S8_S8_S8_bb ; -- Begin function _ZN9rocsparseL35csrgemm_symbolic_fill_block_per_rowILj1024ELj64ELj4096ELj137ELj64EliEEvT5_PKS1_S3_PKT4_S3_S6_S3_S6_S3_S6_PS1_21rocsparse_index_base_S8_S8_S8_bb
	.p2align	8
	.type	_ZN9rocsparseL35csrgemm_symbolic_fill_block_per_rowILj1024ELj64ELj4096ELj137ELj64EliEEvT5_PKS1_S3_PKT4_S3_S6_S3_S6_S3_S6_PS1_21rocsparse_index_base_S8_S8_S8_bb,@function
_ZN9rocsparseL35csrgemm_symbolic_fill_block_per_rowILj1024ELj64ELj4096ELj137ELj64EliEEvT5_PKS1_S3_PKT4_S3_S6_S3_S6_S3_S6_PS1_21rocsparse_index_base_S8_S8_S8_bb: ; @_ZN9rocsparseL35csrgemm_symbolic_fill_block_per_rowILj1024ELj64ELj4096ELj137ELj64EliEEvT5_PKS1_S3_PKT4_S3_S6_S3_S6_S3_S6_PS1_21rocsparse_index_base_S8_S8_S8_bb
; %bb.0:
	s_load_dwordx4 s[36:39], s[4:5], 0x48
	s_load_dwordx8 s[8:15], s[4:5], 0x28
	s_load_dword s33, s[4:5], 0x0
	s_load_dwordx8 s[16:23], s[4:5], 0x8
	v_or_b32_e32 v7, 0xfffffc00, v0
	v_lshl_add_u32 v8, v0, 2, 0
	s_mov_b64 s[0:1], 0
	s_waitcnt lgkmcnt(0)
	v_mov_b32_e32 v1, s33
	s_movk_i32 s2, 0xbff
	v_mov_b32_e32 v2, v8
	v_mov_b32_e32 v3, v7
.LBB37_1:                               ; =>This Inner Loop Header: Depth=1
	v_add_u32_e32 v3, 0x400, v3
	v_cmp_lt_u32_e32 vcc, s2, v3
	ds_write_b32 v2, v1
	s_or_b64 s[0:1], vcc, s[0:1]
	v_add_u32_e32 v2, 0x1000, v2
	s_andn2_b64 exec, exec, s[0:1]
	s_cbranch_execnz .LBB37_1
; %bb.2:
	s_or_b64 exec, exec, s[0:1]
	s_load_dword s30, s[4:5], 0x68
	s_waitcnt lgkmcnt(0)
	s_barrier
	s_load_dword s2, s[16:17], 0x0
	s_load_dwordx4 s[40:43], s[4:5], 0x58
	s_bitcmp1_b32 s30, 0
	s_cselect_b64 s[0:1], -1, 0
	s_mov_b32 s3, 0
	s_waitcnt lgkmcnt(0)
	s_add_i32 s2, s2, s6
	s_lshl_b64 s[2:3], s[2:3], 2
	s_add_u32 s2, s18, s2
	s_addc_u32 s3, s19, s3
	s_load_dword s34, s[2:3], 0x0
	v_lshrrev_b32_e32 v9, 6, v0
	s_and_b64 vcc, exec, s[0:1]
	s_cbranch_vccz .LBB37_18
; %bb.3:
	s_waitcnt lgkmcnt(0)
	s_ashr_i32 s35, s34, 31
	s_lshl_b64 s[0:1], s[34:35], 3
	s_add_u32 s0, s20, s0
	s_addc_u32 s1, s21, s1
	s_load_dwordx4 s[4:7], s[0:1], 0x0
	v_subrev_co_u32_e32 v1, vcc, s40, v9
	v_subb_co_u32_e64 v2, s[0:1], 0, 0, vcc
	s_waitcnt lgkmcnt(0)
	s_sub_u32 s0, s6, s40
	v_mov_b32_e32 v3, s5
	v_add_co_u32_e32 v1, vcc, s4, v1
	s_subb_u32 s1, s7, 0
	v_addc_co_u32_e32 v2, vcc, v3, v2, vcc
	v_cmp_gt_i64_e32 vcc, s[0:1], v[1:2]
	s_and_saveexec_b64 s[2:3], vcc
	s_cbranch_execz .LBB37_17
; %bb.4:
	v_and_b32_e32 v3, 63, v0
	v_subrev_co_u32_e32 v10, vcc, s41, v3
	v_subb_co_u32_e64 v11, s[4:5], 0, 0, vcc
	s_mov_b32 s31, s41
	s_mov_b64 s[4:5], 0
	v_mov_b32_e32 v12, s23
	v_mov_b32_e32 v13, s9
	s_movk_i32 s9, 0x89
	s_branch .LBB37_6
.LBB37_5:                               ;   in Loop: Header=BB37_6 Depth=1
	s_or_b64 exec, exec, s[6:7]
	v_add_co_u32_e32 v1, vcc, 16, v1
	v_addc_co_u32_e32 v2, vcc, 0, v2, vcc
	v_cmp_le_i64_e32 vcc, s[0:1], v[1:2]
	s_or_b64 s[4:5], vcc, s[4:5]
	s_andn2_b64 exec, exec, s[4:5]
	s_cbranch_execz .LBB37_17
.LBB37_6:                               ; =>This Loop Header: Depth=1
                                        ;     Child Loop BB37_9 Depth 2
                                        ;       Child Loop BB37_12 Depth 3
	v_lshlrev_b64 v[3:4], 2, v[1:2]
	v_add_co_u32_e32 v3, vcc, s22, v3
	v_addc_co_u32_e32 v4, vcc, v12, v4, vcc
	global_load_dword v3, v[3:4], off
	s_waitcnt vmcnt(0)
	v_subrev_u32_e32 v3, s40, v3
	v_ashrrev_i32_e32 v4, 31, v3
	v_lshlrev_b64 v[3:4], 3, v[3:4]
	v_add_co_u32_e32 v3, vcc, s8, v3
	v_addc_co_u32_e32 v4, vcc, v13, v4, vcc
	global_load_dwordx4 v[14:17], v[3:4], off
	s_waitcnt vmcnt(0)
	v_subrev_co_u32_e32 v3, vcc, s31, v16
	v_subbrev_co_u32_e32 v4, vcc, 0, v17, vcc
	v_add_co_u32_e32 v5, vcc, v14, v10
	v_addc_co_u32_e32 v6, vcc, v15, v11, vcc
	v_cmp_lt_i64_e32 vcc, v[5:6], v[3:4]
	s_and_saveexec_b64 s[6:7], vcc
	s_cbranch_execz .LBB37_5
; %bb.7:                                ;   in Loop: Header=BB37_6 Depth=1
	s_mov_b64 s[16:17], 0
	s_branch .LBB37_9
.LBB37_8:                               ;   in Loop: Header=BB37_9 Depth=2
	s_or_b64 exec, exec, s[18:19]
	v_add_co_u32_e32 v5, vcc, 64, v5
	v_addc_co_u32_e32 v6, vcc, 0, v6, vcc
	v_cmp_ge_i64_e32 vcc, v[5:6], v[3:4]
	s_or_b64 s[16:17], vcc, s[16:17]
	s_andn2_b64 exec, exec, s[16:17]
	s_cbranch_execz .LBB37_5
.LBB37_9:                               ;   Parent Loop BB37_6 Depth=1
                                        ; =>  This Loop Header: Depth=2
                                        ;       Child Loop BB37_12 Depth 3
	v_lshlrev_b64 v[14:15], 2, v[5:6]
	v_mov_b32_e32 v16, s11
	v_add_co_u32_e32 v14, vcc, s10, v14
	v_addc_co_u32_e32 v15, vcc, v16, v15, vcc
	global_load_dword v14, v[14:15], off
	s_mov_b64 s[18:19], 0
                                        ; implicit-def: $sgpr20_sgpr21
	s_waitcnt vmcnt(0)
	v_subrev_u32_e32 v14, s41, v14
	v_mul_lo_u32 v15, v14, s9
	v_and_b32_e32 v15, 0xfff, v15
	s_branch .LBB37_12
.LBB37_10:                              ;   in Loop: Header=BB37_12 Depth=3
	s_or_b64 exec, exec, s[26:27]
	s_andn2_b64 s[20:21], s[20:21], exec
	s_and_b64 s[26:27], s[28:29], exec
	s_or_b64 s[20:21], s[20:21], s[26:27]
.LBB37_11:                              ;   in Loop: Header=BB37_12 Depth=3
	s_or_b64 exec, exec, s[24:25]
	s_xor_b64 s[24:25], s[20:21], -1
	s_and_b64 s[24:25], exec, s[24:25]
	s_or_b64 s[18:19], s[24:25], s[18:19]
	s_andn2_b64 exec, exec, s[18:19]
	s_cbranch_execz .LBB37_8
.LBB37_12:                              ;   Parent Loop BB37_6 Depth=1
                                        ;     Parent Loop BB37_9 Depth=2
                                        ; =>    This Inner Loop Header: Depth=3
	v_lshl_add_u32 v16, v15, 2, 0
	ds_read_b32 v17, v16
	s_andn2_b64 s[20:21], s[20:21], exec
	s_waitcnt lgkmcnt(0)
	v_cmp_ne_u32_e32 vcc, v17, v14
	s_and_saveexec_b64 s[24:25], vcc
	s_cbranch_execz .LBB37_11
; %bb.13:                               ;   in Loop: Header=BB37_12 Depth=3
	v_cmp_ne_u32_e32 vcc, s33, v17
	s_and_saveexec_b64 s[26:27], vcc
	s_xor_b64 s[26:27], exec, s[26:27]
; %bb.14:                               ;   in Loop: Header=BB37_12 Depth=3
	v_add_u32_e32 v15, 1, v15
	v_and_b32_e32 v15, 0xfff, v15
                                        ; implicit-def: $vgpr16
; %bb.15:                               ;   in Loop: Header=BB37_12 Depth=3
	s_or_saveexec_b64 s[26:27], s[26:27]
	s_mov_b64 s[28:29], -1
	s_xor_b64 exec, exec, s[26:27]
	s_cbranch_execz .LBB37_10
; %bb.16:                               ;   in Loop: Header=BB37_12 Depth=3
	v_mov_b32_e32 v17, s33
	ds_cmpst_rtn_b32 v16, v16, v17, v14
	s_waitcnt lgkmcnt(0)
	v_cmp_ne_u32_e32 vcc, s33, v16
	s_orn2_b64 s[28:29], vcc, exec
	s_branch .LBB37_10
.LBB37_17:
	s_or_b64 exec, exec, s[2:3]
.LBB37_18:
	s_bfe_u32 s0, s30, 0x10008
	s_cmp_eq_u32 s0, 0
	s_cbranch_scc1 .LBB37_31
; %bb.19:
	s_waitcnt lgkmcnt(0)
	s_ashr_i32 s35, s34, 31
	s_lshl_b64 s[0:1], s[34:35], 3
	s_add_u32 s0, s12, s0
	s_addc_u32 s1, s13, s1
	s_load_dwordx4 s[4:7], s[0:1], 0x0
	v_subrev_co_u32_e32 v1, vcc, s43, v0
	v_subb_co_u32_e64 v2, s[0:1], 0, 0, vcc
	s_waitcnt lgkmcnt(0)
	s_sub_u32 s0, s6, s43
	v_mov_b32_e32 v3, s5
	v_add_co_u32_e32 v1, vcc, s4, v1
	s_subb_u32 s1, s7, 0
	v_addc_co_u32_e32 v2, vcc, v3, v2, vcc
	v_cmp_gt_i64_e32 vcc, s[0:1], v[1:2]
	s_and_saveexec_b64 s[2:3], vcc
	s_cbranch_execz .LBB37_30
; %bb.20:
	s_mov_b64 s[4:5], 0
	v_mov_b32_e32 v3, s15
	s_movk_i32 s15, 0x89
	s_branch .LBB37_22
.LBB37_21:                              ;   in Loop: Header=BB37_22 Depth=1
	s_or_b64 exec, exec, s[6:7]
	v_add_co_u32_e32 v1, vcc, 0x400, v1
	v_addc_co_u32_e32 v2, vcc, 0, v2, vcc
	v_cmp_le_i64_e32 vcc, s[0:1], v[1:2]
	s_or_b64 s[4:5], vcc, s[4:5]
	s_andn2_b64 exec, exec, s[4:5]
	s_cbranch_execz .LBB37_30
.LBB37_22:                              ; =>This Loop Header: Depth=1
                                        ;     Child Loop BB37_25 Depth 2
	v_lshlrev_b64 v[4:5], 2, v[1:2]
	s_mov_b64 s[6:7], 0
	v_add_co_u32_e32 v4, vcc, s14, v4
	v_addc_co_u32_e32 v5, vcc, v3, v5, vcc
	global_load_dword v4, v[4:5], off
                                        ; implicit-def: $sgpr8_sgpr9
	s_waitcnt vmcnt(0)
	v_subrev_u32_e32 v4, s43, v4
	v_mul_lo_u32 v5, v4, s15
	v_and_b32_e32 v5, 0xfff, v5
	s_branch .LBB37_25
.LBB37_23:                              ;   in Loop: Header=BB37_25 Depth=2
	s_or_b64 exec, exec, s[12:13]
	s_andn2_b64 s[8:9], s[8:9], exec
	s_and_b64 s[12:13], s[16:17], exec
	s_or_b64 s[8:9], s[8:9], s[12:13]
.LBB37_24:                              ;   in Loop: Header=BB37_25 Depth=2
	s_or_b64 exec, exec, s[10:11]
	s_xor_b64 s[10:11], s[8:9], -1
	s_and_b64 s[10:11], exec, s[10:11]
	s_or_b64 s[6:7], s[10:11], s[6:7]
	s_andn2_b64 exec, exec, s[6:7]
	s_cbranch_execz .LBB37_21
.LBB37_25:                              ;   Parent Loop BB37_22 Depth=1
                                        ; =>  This Inner Loop Header: Depth=2
	v_lshl_add_u32 v6, v5, 2, 0
	ds_read_b32 v10, v6
	s_andn2_b64 s[8:9], s[8:9], exec
	s_waitcnt lgkmcnt(0)
	v_cmp_ne_u32_e32 vcc, v10, v4
	s_and_saveexec_b64 s[10:11], vcc
	s_cbranch_execz .LBB37_24
; %bb.26:                               ;   in Loop: Header=BB37_25 Depth=2
	v_cmp_ne_u32_e32 vcc, s33, v10
	s_and_saveexec_b64 s[12:13], vcc
	s_xor_b64 s[12:13], exec, s[12:13]
; %bb.27:                               ;   in Loop: Header=BB37_25 Depth=2
	v_add_u32_e32 v5, 1, v5
	v_and_b32_e32 v5, 0xfff, v5
                                        ; implicit-def: $vgpr6
; %bb.28:                               ;   in Loop: Header=BB37_25 Depth=2
	s_or_saveexec_b64 s[12:13], s[12:13]
	s_mov_b64 s[16:17], -1
	s_xor_b64 exec, exec, s[12:13]
	s_cbranch_execz .LBB37_23
; %bb.29:                               ;   in Loop: Header=BB37_25 Depth=2
	v_mov_b32_e32 v10, s33
	ds_cmpst_rtn_b32 v6, v6, v10, v4
	s_waitcnt lgkmcnt(0)
	v_cmp_ne_u32_e32 vcc, s33, v6
	s_orn2_b64 s[16:17], vcc, exec
	s_branch .LBB37_23
.LBB37_30:
	s_or_b64 exec, exec, s[2:3]
.LBB37_31:
	v_mbcnt_lo_u32_b32 v1, -1, 0
	v_mbcnt_hi_u32_b32 v1, -1, v1
	v_sub_u32_e32 v1, 63, v1
	v_lshrrev_b64 v[1:2], v1, -1
	s_movk_i32 s0, 0x3ff
	s_movk_i32 s2, 0x7f
	;; [unrolled: 1-line block ×15, first 2 shown]
	v_mov_b32_e32 v3, 0
	v_lshl_add_u32 v4, v9, 2, 0
	v_cmp_eq_u32_e32 vcc, s0, v0
	v_cmp_lt_u32_e64 s[0:1], 63, v0
	v_cmp_lt_u32_e64 s[2:3], s2, v0
	;; [unrolled: 1-line block ×15, first 2 shown]
	s_mov_b64 s[40:41], 0
	s_movk_i32 s35, 0xbff
	v_mov_b32_e32 v5, 0
	s_waitcnt lgkmcnt(0)
	s_barrier
	s_branch .LBB37_33
.LBB37_32:                              ;   in Loop: Header=BB37_33 Depth=1
	s_or_b64 exec, exec, s[30:31]
	s_waitcnt lgkmcnt(0)
	s_barrier
	ds_read_b32 v6, v3 offset:16444
	v_add_u32_e32 v7, 0x400, v7
	v_cmp_lt_u32_e64 s[30:31], s35, v7
	s_or_b64 s[40:41], s[30:31], s[40:41]
	v_add_u32_e32 v8, 0x1000, v8
	s_waitcnt lgkmcnt(0)
	v_add_u32_e32 v5, v6, v5
	s_andn2_b64 exec, exec, s[40:41]
	s_cbranch_execz .LBB37_67
.LBB37_33:                              ; =>This Inner Loop Header: Depth=1
	ds_read_b32 v6, v8
	s_waitcnt lgkmcnt(0)
	s_barrier
	v_cmp_gt_i32_e64 s[30:31], s33, v6
	v_and_b32_e32 v10, s30, v1
	s_bcnt1_i32_b64 s43, s[30:31]
	v_and_b32_e32 v9, s31, v2
	v_bcnt_u32_b32 v10, v10, 0
	v_bcnt_u32_b32 v9, v9, v10
	v_mov_b32_e32 v10, s43
	ds_write_b32 v4, v10 offset:16384
	s_waitcnt lgkmcnt(0)
	s_barrier
	s_and_saveexec_b64 s[44:45], s[0:1]
	s_cbranch_execnz .LBB37_50
; %bb.34:                               ;   in Loop: Header=BB37_33 Depth=1
	s_or_b64 exec, exec, s[44:45]
	s_and_saveexec_b64 s[44:45], s[2:3]
	s_cbranch_execnz .LBB37_51
.LBB37_35:                              ;   in Loop: Header=BB37_33 Depth=1
	s_or_b64 exec, exec, s[44:45]
	s_and_saveexec_b64 s[44:45], s[4:5]
	s_cbranch_execnz .LBB37_52
.LBB37_36:                              ;   in Loop: Header=BB37_33 Depth=1
	s_or_b64 exec, exec, s[44:45]
	s_and_saveexec_b64 s[44:45], s[6:7]
	s_cbranch_execnz .LBB37_53
.LBB37_37:                              ;   in Loop: Header=BB37_33 Depth=1
	s_or_b64 exec, exec, s[44:45]
	s_and_saveexec_b64 s[44:45], s[8:9]
	s_cbranch_execnz .LBB37_54
.LBB37_38:                              ;   in Loop: Header=BB37_33 Depth=1
	s_or_b64 exec, exec, s[44:45]
	s_and_saveexec_b64 s[44:45], s[10:11]
	s_cbranch_execnz .LBB37_55
.LBB37_39:                              ;   in Loop: Header=BB37_33 Depth=1
	s_or_b64 exec, exec, s[44:45]
	s_and_saveexec_b64 s[44:45], s[12:13]
	s_cbranch_execnz .LBB37_56
.LBB37_40:                              ;   in Loop: Header=BB37_33 Depth=1
	s_or_b64 exec, exec, s[44:45]
	s_and_saveexec_b64 s[44:45], s[14:15]
	s_cbranch_execnz .LBB37_57
.LBB37_41:                              ;   in Loop: Header=BB37_33 Depth=1
	s_or_b64 exec, exec, s[44:45]
	s_and_saveexec_b64 s[44:45], s[16:17]
	s_cbranch_execnz .LBB37_58
.LBB37_42:                              ;   in Loop: Header=BB37_33 Depth=1
	s_or_b64 exec, exec, s[44:45]
	s_and_saveexec_b64 s[44:45], s[18:19]
	s_cbranch_execnz .LBB37_59
.LBB37_43:                              ;   in Loop: Header=BB37_33 Depth=1
	s_or_b64 exec, exec, s[44:45]
	s_and_saveexec_b64 s[44:45], s[20:21]
	s_cbranch_execnz .LBB37_60
.LBB37_44:                              ;   in Loop: Header=BB37_33 Depth=1
	s_or_b64 exec, exec, s[44:45]
	s_and_saveexec_b64 s[44:45], s[22:23]
	s_cbranch_execnz .LBB37_61
.LBB37_45:                              ;   in Loop: Header=BB37_33 Depth=1
	s_or_b64 exec, exec, s[44:45]
	s_and_saveexec_b64 s[44:45], s[24:25]
	s_cbranch_execnz .LBB37_62
.LBB37_46:                              ;   in Loop: Header=BB37_33 Depth=1
	s_or_b64 exec, exec, s[44:45]
	s_and_saveexec_b64 s[44:45], s[26:27]
	s_cbranch_execnz .LBB37_63
.LBB37_47:                              ;   in Loop: Header=BB37_33 Depth=1
	s_or_b64 exec, exec, s[44:45]
	s_and_saveexec_b64 s[44:45], s[28:29]
	s_cbranch_execnz .LBB37_64
.LBB37_48:                              ;   in Loop: Header=BB37_33 Depth=1
	s_or_b64 exec, exec, s[44:45]
	s_and_saveexec_b64 s[44:45], s[30:31]
	s_cbranch_execnz .LBB37_65
.LBB37_49:                              ;   in Loop: Header=BB37_33 Depth=1
	s_or_b64 exec, exec, s[44:45]
	s_and_saveexec_b64 s[30:31], vcc
	s_cbranch_execz .LBB37_32
	s_branch .LBB37_66
.LBB37_50:                              ;   in Loop: Header=BB37_33 Depth=1
	ds_read_b32 v10, v3 offset:16384
	s_waitcnt lgkmcnt(0)
	v_add_u32_e32 v9, v10, v9
	s_or_b64 exec, exec, s[44:45]
	s_and_saveexec_b64 s[44:45], s[2:3]
	s_cbranch_execz .LBB37_35
.LBB37_51:                              ;   in Loop: Header=BB37_33 Depth=1
	ds_read_b32 v10, v3 offset:16388
	s_waitcnt lgkmcnt(0)
	v_add_u32_e32 v9, v10, v9
	s_or_b64 exec, exec, s[44:45]
	s_and_saveexec_b64 s[44:45], s[4:5]
	s_cbranch_execz .LBB37_36
.LBB37_52:                              ;   in Loop: Header=BB37_33 Depth=1
	ds_read_b32 v10, v3 offset:16392
	s_waitcnt lgkmcnt(0)
	v_add_u32_e32 v9, v10, v9
	s_or_b64 exec, exec, s[44:45]
	s_and_saveexec_b64 s[44:45], s[6:7]
	s_cbranch_execz .LBB37_37
.LBB37_53:                              ;   in Loop: Header=BB37_33 Depth=1
	ds_read_b32 v10, v3 offset:16396
	s_waitcnt lgkmcnt(0)
	v_add_u32_e32 v9, v10, v9
	s_or_b64 exec, exec, s[44:45]
	s_and_saveexec_b64 s[44:45], s[8:9]
	s_cbranch_execz .LBB37_38
.LBB37_54:                              ;   in Loop: Header=BB37_33 Depth=1
	ds_read_b32 v10, v3 offset:16400
	s_waitcnt lgkmcnt(0)
	v_add_u32_e32 v9, v10, v9
	s_or_b64 exec, exec, s[44:45]
	s_and_saveexec_b64 s[44:45], s[10:11]
	s_cbranch_execz .LBB37_39
.LBB37_55:                              ;   in Loop: Header=BB37_33 Depth=1
	ds_read_b32 v10, v3 offset:16404
	s_waitcnt lgkmcnt(0)
	v_add_u32_e32 v9, v10, v9
	s_or_b64 exec, exec, s[44:45]
	s_and_saveexec_b64 s[44:45], s[12:13]
	s_cbranch_execz .LBB37_40
.LBB37_56:                              ;   in Loop: Header=BB37_33 Depth=1
	ds_read_b32 v10, v3 offset:16408
	s_waitcnt lgkmcnt(0)
	v_add_u32_e32 v9, v10, v9
	s_or_b64 exec, exec, s[44:45]
	s_and_saveexec_b64 s[44:45], s[14:15]
	s_cbranch_execz .LBB37_41
.LBB37_57:                              ;   in Loop: Header=BB37_33 Depth=1
	ds_read_b32 v10, v3 offset:16412
	s_waitcnt lgkmcnt(0)
	v_add_u32_e32 v9, v10, v9
	s_or_b64 exec, exec, s[44:45]
	s_and_saveexec_b64 s[44:45], s[16:17]
	s_cbranch_execz .LBB37_42
.LBB37_58:                              ;   in Loop: Header=BB37_33 Depth=1
	ds_read_b32 v10, v3 offset:16416
	s_waitcnt lgkmcnt(0)
	v_add_u32_e32 v9, v10, v9
	s_or_b64 exec, exec, s[44:45]
	s_and_saveexec_b64 s[44:45], s[18:19]
	s_cbranch_execz .LBB37_43
.LBB37_59:                              ;   in Loop: Header=BB37_33 Depth=1
	ds_read_b32 v10, v3 offset:16420
	s_waitcnt lgkmcnt(0)
	v_add_u32_e32 v9, v10, v9
	s_or_b64 exec, exec, s[44:45]
	s_and_saveexec_b64 s[44:45], s[20:21]
	s_cbranch_execz .LBB37_44
.LBB37_60:                              ;   in Loop: Header=BB37_33 Depth=1
	ds_read_b32 v10, v3 offset:16424
	s_waitcnt lgkmcnt(0)
	v_add_u32_e32 v9, v10, v9
	s_or_b64 exec, exec, s[44:45]
	s_and_saveexec_b64 s[44:45], s[22:23]
	s_cbranch_execz .LBB37_45
.LBB37_61:                              ;   in Loop: Header=BB37_33 Depth=1
	ds_read_b32 v10, v3 offset:16428
	s_waitcnt lgkmcnt(0)
	v_add_u32_e32 v9, v10, v9
	s_or_b64 exec, exec, s[44:45]
	s_and_saveexec_b64 s[44:45], s[24:25]
	s_cbranch_execz .LBB37_46
.LBB37_62:                              ;   in Loop: Header=BB37_33 Depth=1
	ds_read_b32 v10, v3 offset:16432
	s_waitcnt lgkmcnt(0)
	v_add_u32_e32 v9, v10, v9
	s_or_b64 exec, exec, s[44:45]
	s_and_saveexec_b64 s[44:45], s[26:27]
	s_cbranch_execz .LBB37_47
.LBB37_63:                              ;   in Loop: Header=BB37_33 Depth=1
	ds_read_b32 v10, v3 offset:16436
	s_waitcnt lgkmcnt(0)
	v_add_u32_e32 v9, v10, v9
	s_or_b64 exec, exec, s[44:45]
	s_and_saveexec_b64 s[44:45], s[28:29]
	s_cbranch_execz .LBB37_48
.LBB37_64:                              ;   in Loop: Header=BB37_33 Depth=1
	ds_read_b32 v10, v3 offset:16440
	s_waitcnt lgkmcnt(0)
	v_add_u32_e32 v9, v10, v9
	s_or_b64 exec, exec, s[44:45]
	s_and_saveexec_b64 s[44:45], s[30:31]
	s_cbranch_execz .LBB37_49
.LBB37_65:                              ;   in Loop: Header=BB37_33 Depth=1
	v_lshlrev_b32_e32 v10, 2, v5
	v_add_u32_e32 v10, 0, v10
	v_lshlrev_b32_e32 v11, 2, v9
	v_add3_u32 v10, v10, v11, -4
	ds_write_b32 v10, v6
	s_or_b64 exec, exec, s[44:45]
	s_and_saveexec_b64 s[30:31], vcc
	s_cbranch_execz .LBB37_32
.LBB37_66:                              ;   in Loop: Header=BB37_33 Depth=1
	ds_write_b32 v3, v9 offset:16444
	s_branch .LBB37_32
.LBB37_67:
	s_or_b64 exec, exec, s[40:41]
	s_ashr_i32 s35, s34, 31
	s_lshl_b64 s[0:1], s[34:35], 3
	s_add_u32 s4, s36, s0
	s_addc_u32 s5, s37, s1
	s_load_dwordx4 s[0:3], s[4:5], 0x0
	s_waitcnt lgkmcnt(0)
	s_sub_i32 s8, s2, s0
	v_cmp_gt_i32_e32 vcc, s8, v0
	s_and_saveexec_b64 s[4:5], vcc
	s_cbranch_execz .LBB37_77
; %bb.68:
	s_sub_u32 s4, s0, s42
	s_subb_u32 s5, s1, 0
	s_and_b32 s9, s8, 7
	s_sub_i32 s0, s0, s2
	s_cmp_lt_u32 s0, -7
	s_cselect_b64 s[0:1], -1, 0
	s_and_b32 s10, s8, -8
	s_cmp_lg_u32 s9, 0
	v_cndmask_b32_e64 v1, 0, 1, s[0:1]
	s_mov_b64 s[2:3], 0
	s_cselect_b64 s[6:7], -1, 0
	v_cmp_ne_u32_e64 s[0:1], 1, v1
	s_branch .LBB37_70
.LBB37_69:                              ;   in Loop: Header=BB37_70 Depth=1
	v_lshlrev_b64 v[1:2], 2, v[1:2]
	v_mov_b32_e32 v4, s39
	v_add_co_u32_e32 v1, vcc, s38, v1
	v_addc_co_u32_e32 v2, vcc, v4, v2, vcc
	v_add_u32_e32 v0, 0x400, v0
	v_cmp_le_i32_e32 vcc, s8, v0
	s_waitcnt lgkmcnt(0)
	v_add_u32_e32 v3, s42, v3
	s_or_b64 s[2:3], vcc, s[2:3]
	global_store_dword v[1:2], v3, off
	s_andn2_b64 exec, exec, s[2:3]
	s_cbranch_execz .LBB37_77
.LBB37_70:                              ; =>This Loop Header: Depth=1
                                        ;     Child Loop BB37_72 Depth 2
                                        ;     Child Loop BB37_76 Depth 2
	v_lshl_add_u32 v1, v0, 2, 0
	ds_read_b32 v3, v1
	v_mov_b32_e32 v1, s4
	s_and_b64 vcc, exec, s[0:1]
	v_mov_b32_e32 v2, s5
	s_mov_b32 s11, 0
	s_cbranch_vccnz .LBB37_74
; %bb.71:                               ;   in Loop: Header=BB37_70 Depth=1
	v_mov_b32_e32 v1, s4
	s_mov_b32 s12, 0
	v_mov_b32_e32 v2, s5
.LBB37_72:                              ;   Parent Loop BB37_70 Depth=1
                                        ; =>  This Inner Loop Header: Depth=2
	v_mov_b32_e32 v10, s12
	ds_read2_b32 v[4:5], v10 offset1:1
	ds_read2_b32 v[6:7], v10 offset0:2 offset1:3
	ds_read2_b32 v[8:9], v10 offset0:4 offset1:5
	;; [unrolled: 1-line block ×3, first 2 shown]
	s_add_i32 s11, s11, 8
	s_waitcnt lgkmcnt(3)
	v_cmp_gt_i32_e32 vcc, v3, v4
	v_cndmask_b32_e64 v4, 0, 1, vcc
	v_cmp_gt_i32_e32 vcc, v3, v5
	v_cndmask_b32_e64 v5, 0, 1, vcc
	s_waitcnt lgkmcnt(2)
	v_cmp_gt_i32_e32 vcc, v3, v6
	v_cndmask_b32_e64 v6, 0, 1, vcc
	v_cmp_gt_i32_e32 vcc, v3, v7
	v_cndmask_b32_e64 v7, 0, 1, vcc
	;; [unrolled: 5-line block ×4, first 2 shown]
	v_add_co_u32_e32 v1, vcc, v1, v4
	v_addc_co_u32_e32 v2, vcc, 0, v2, vcc
	v_add_co_u32_e32 v1, vcc, v1, v5
	v_addc_co_u32_e32 v2, vcc, 0, v2, vcc
	;; [unrolled: 2-line block ×7, first 2 shown]
	s_add_i32 s12, s12, 32
	v_add_co_u32_e32 v1, vcc, v1, v11
	s_cmp_eq_u32 s10, s11
	v_addc_co_u32_e32 v2, vcc, 0, v2, vcc
	s_cbranch_scc0 .LBB37_72
; %bb.73:                               ;   in Loop: Header=BB37_70 Depth=1
	s_mov_b32 s11, s10
.LBB37_74:                              ;   in Loop: Header=BB37_70 Depth=1
	s_andn2_b64 vcc, exec, s[6:7]
	s_cbranch_vccnz .LBB37_69
; %bb.75:                               ;   in Loop: Header=BB37_70 Depth=1
	s_lshl_b32 s11, s11, 2
	s_add_i32 s11, s11, 0
	s_mov_b32 s12, s9
.LBB37_76:                              ;   Parent Loop BB37_70 Depth=1
                                        ; =>  This Inner Loop Header: Depth=2
	v_mov_b32_e32 v4, s11
	ds_read_b32 v4, v4
	s_add_i32 s11, s11, 4
	s_add_i32 s12, s12, -1
	s_cmp_lg_u32 s12, 0
	s_waitcnt lgkmcnt(0)
	v_cmp_gt_i32_e32 vcc, v3, v4
	v_cndmask_b32_e64 v4, 0, 1, vcc
	v_add_co_u32_e32 v1, vcc, v1, v4
	v_addc_co_u32_e32 v2, vcc, 0, v2, vcc
	s_cbranch_scc1 .LBB37_76
	s_branch .LBB37_69
.LBB37_77:
	s_endpgm
	.section	.rodata,"a",@progbits
	.p2align	6, 0x0
	.amdhsa_kernel _ZN9rocsparseL35csrgemm_symbolic_fill_block_per_rowILj1024ELj64ELj4096ELj137ELj64EliEEvT5_PKS1_S3_PKT4_S3_S6_S3_S6_S3_S6_PS1_21rocsparse_index_base_S8_S8_S8_bb
		.amdhsa_group_segment_fixed_size 0
		.amdhsa_private_segment_fixed_size 0
		.amdhsa_kernarg_size 108
		.amdhsa_user_sgpr_count 6
		.amdhsa_user_sgpr_private_segment_buffer 1
		.amdhsa_user_sgpr_dispatch_ptr 0
		.amdhsa_user_sgpr_queue_ptr 0
		.amdhsa_user_sgpr_kernarg_segment_ptr 1
		.amdhsa_user_sgpr_dispatch_id 0
		.amdhsa_user_sgpr_flat_scratch_init 0
		.amdhsa_user_sgpr_private_segment_size 0
		.amdhsa_uses_dynamic_stack 0
		.amdhsa_system_sgpr_private_segment_wavefront_offset 0
		.amdhsa_system_sgpr_workgroup_id_x 1
		.amdhsa_system_sgpr_workgroup_id_y 0
		.amdhsa_system_sgpr_workgroup_id_z 0
		.amdhsa_system_sgpr_workgroup_info 0
		.amdhsa_system_vgpr_workitem_id 0
		.amdhsa_next_free_vgpr 18
		.amdhsa_next_free_sgpr 46
		.amdhsa_reserve_vcc 1
		.amdhsa_reserve_flat_scratch 0
		.amdhsa_float_round_mode_32 0
		.amdhsa_float_round_mode_16_64 0
		.amdhsa_float_denorm_mode_32 3
		.amdhsa_float_denorm_mode_16_64 3
		.amdhsa_dx10_clamp 1
		.amdhsa_ieee_mode 1
		.amdhsa_fp16_overflow 0
		.amdhsa_exception_fp_ieee_invalid_op 0
		.amdhsa_exception_fp_denorm_src 0
		.amdhsa_exception_fp_ieee_div_zero 0
		.amdhsa_exception_fp_ieee_overflow 0
		.amdhsa_exception_fp_ieee_underflow 0
		.amdhsa_exception_fp_ieee_inexact 0
		.amdhsa_exception_int_div_zero 0
	.end_amdhsa_kernel
	.section	.text._ZN9rocsparseL35csrgemm_symbolic_fill_block_per_rowILj1024ELj64ELj4096ELj137ELj64EliEEvT5_PKS1_S3_PKT4_S3_S6_S3_S6_S3_S6_PS1_21rocsparse_index_base_S8_S8_S8_bb,"axG",@progbits,_ZN9rocsparseL35csrgemm_symbolic_fill_block_per_rowILj1024ELj64ELj4096ELj137ELj64EliEEvT5_PKS1_S3_PKT4_S3_S6_S3_S6_S3_S6_PS1_21rocsparse_index_base_S8_S8_S8_bb,comdat
.Lfunc_end37:
	.size	_ZN9rocsparseL35csrgemm_symbolic_fill_block_per_rowILj1024ELj64ELj4096ELj137ELj64EliEEvT5_PKS1_S3_PKT4_S3_S6_S3_S6_S3_S6_PS1_21rocsparse_index_base_S8_S8_S8_bb, .Lfunc_end37-_ZN9rocsparseL35csrgemm_symbolic_fill_block_per_rowILj1024ELj64ELj4096ELj137ELj64EliEEvT5_PKS1_S3_PKT4_S3_S6_S3_S6_S3_S6_PS1_21rocsparse_index_base_S8_S8_S8_bb
                                        ; -- End function
	.set _ZN9rocsparseL35csrgemm_symbolic_fill_block_per_rowILj1024ELj64ELj4096ELj137ELj64EliEEvT5_PKS1_S3_PKT4_S3_S6_S3_S6_S3_S6_PS1_21rocsparse_index_base_S8_S8_S8_bb.num_vgpr, 18
	.set _ZN9rocsparseL35csrgemm_symbolic_fill_block_per_rowILj1024ELj64ELj4096ELj137ELj64EliEEvT5_PKS1_S3_PKT4_S3_S6_S3_S6_S3_S6_PS1_21rocsparse_index_base_S8_S8_S8_bb.num_agpr, 0
	.set _ZN9rocsparseL35csrgemm_symbolic_fill_block_per_rowILj1024ELj64ELj4096ELj137ELj64EliEEvT5_PKS1_S3_PKT4_S3_S6_S3_S6_S3_S6_PS1_21rocsparse_index_base_S8_S8_S8_bb.numbered_sgpr, 46
	.set _ZN9rocsparseL35csrgemm_symbolic_fill_block_per_rowILj1024ELj64ELj4096ELj137ELj64EliEEvT5_PKS1_S3_PKT4_S3_S6_S3_S6_S3_S6_PS1_21rocsparse_index_base_S8_S8_S8_bb.num_named_barrier, 0
	.set _ZN9rocsparseL35csrgemm_symbolic_fill_block_per_rowILj1024ELj64ELj4096ELj137ELj64EliEEvT5_PKS1_S3_PKT4_S3_S6_S3_S6_S3_S6_PS1_21rocsparse_index_base_S8_S8_S8_bb.private_seg_size, 0
	.set _ZN9rocsparseL35csrgemm_symbolic_fill_block_per_rowILj1024ELj64ELj4096ELj137ELj64EliEEvT5_PKS1_S3_PKT4_S3_S6_S3_S6_S3_S6_PS1_21rocsparse_index_base_S8_S8_S8_bb.uses_vcc, 1
	.set _ZN9rocsparseL35csrgemm_symbolic_fill_block_per_rowILj1024ELj64ELj4096ELj137ELj64EliEEvT5_PKS1_S3_PKT4_S3_S6_S3_S6_S3_S6_PS1_21rocsparse_index_base_S8_S8_S8_bb.uses_flat_scratch, 0
	.set _ZN9rocsparseL35csrgemm_symbolic_fill_block_per_rowILj1024ELj64ELj4096ELj137ELj64EliEEvT5_PKS1_S3_PKT4_S3_S6_S3_S6_S3_S6_PS1_21rocsparse_index_base_S8_S8_S8_bb.has_dyn_sized_stack, 0
	.set _ZN9rocsparseL35csrgemm_symbolic_fill_block_per_rowILj1024ELj64ELj4096ELj137ELj64EliEEvT5_PKS1_S3_PKT4_S3_S6_S3_S6_S3_S6_PS1_21rocsparse_index_base_S8_S8_S8_bb.has_recursion, 0
	.set _ZN9rocsparseL35csrgemm_symbolic_fill_block_per_rowILj1024ELj64ELj4096ELj137ELj64EliEEvT5_PKS1_S3_PKT4_S3_S6_S3_S6_S3_S6_PS1_21rocsparse_index_base_S8_S8_S8_bb.has_indirect_call, 0
	.section	.AMDGPU.csdata,"",@progbits
; Kernel info:
; codeLenInByte = 2612
; TotalNumSgprs: 50
; NumVgprs: 18
; ScratchSize: 0
; MemoryBound: 0
; FloatMode: 240
; IeeeMode: 1
; LDSByteSize: 0 bytes/workgroup (compile time only)
; SGPRBlocks: 6
; VGPRBlocks: 4
; NumSGPRsForWavesPerEU: 50
; NumVGPRsForWavesPerEU: 18
; Occupancy: 10
; WaveLimiterHint : 1
; COMPUTE_PGM_RSRC2:SCRATCH_EN: 0
; COMPUTE_PGM_RSRC2:USER_SGPR: 6
; COMPUTE_PGM_RSRC2:TRAP_HANDLER: 0
; COMPUTE_PGM_RSRC2:TGID_X_EN: 1
; COMPUTE_PGM_RSRC2:TGID_Y_EN: 0
; COMPUTE_PGM_RSRC2:TGID_Z_EN: 0
; COMPUTE_PGM_RSRC2:TIDIG_COMP_CNT: 0
	.section	.text._ZN9rocsparseL35csrgemm_symbolic_fill_block_per_rowILj1024ELj64ELj8192ELj137ELj32EliEEvT5_PKS1_S3_PKT4_S3_S6_S3_S6_S3_S6_PS1_21rocsparse_index_base_S8_S8_S8_bb,"axG",@progbits,_ZN9rocsparseL35csrgemm_symbolic_fill_block_per_rowILj1024ELj64ELj8192ELj137ELj32EliEEvT5_PKS1_S3_PKT4_S3_S6_S3_S6_S3_S6_PS1_21rocsparse_index_base_S8_S8_S8_bb,comdat
	.globl	_ZN9rocsparseL35csrgemm_symbolic_fill_block_per_rowILj1024ELj64ELj8192ELj137ELj32EliEEvT5_PKS1_S3_PKT4_S3_S6_S3_S6_S3_S6_PS1_21rocsparse_index_base_S8_S8_S8_bb ; -- Begin function _ZN9rocsparseL35csrgemm_symbolic_fill_block_per_rowILj1024ELj64ELj8192ELj137ELj32EliEEvT5_PKS1_S3_PKT4_S3_S6_S3_S6_S3_S6_PS1_21rocsparse_index_base_S8_S8_S8_bb
	.p2align	8
	.type	_ZN9rocsparseL35csrgemm_symbolic_fill_block_per_rowILj1024ELj64ELj8192ELj137ELj32EliEEvT5_PKS1_S3_PKT4_S3_S6_S3_S6_S3_S6_PS1_21rocsparse_index_base_S8_S8_S8_bb,@function
_ZN9rocsparseL35csrgemm_symbolic_fill_block_per_rowILj1024ELj64ELj8192ELj137ELj32EliEEvT5_PKS1_S3_PKT4_S3_S6_S3_S6_S3_S6_PS1_21rocsparse_index_base_S8_S8_S8_bb: ; @_ZN9rocsparseL35csrgemm_symbolic_fill_block_per_rowILj1024ELj64ELj8192ELj137ELj32EliEEvT5_PKS1_S3_PKT4_S3_S6_S3_S6_S3_S6_PS1_21rocsparse_index_base_S8_S8_S8_bb
; %bb.0:
	s_load_dword s33, s[4:5], 0x0
	s_load_dwordx4 s[0:3], s[4:5], 0x8
	v_lshl_add_u32 v7, v0, 2, 0
	s_waitcnt lgkmcnt(0)
	v_mov_b32_e32 v1, s33
	v_mov_b32_e32 v2, s33
	ds_write2st64_b32 v7, v1, v2 offset1:16
	ds_write2st64_b32 v7, v1, v2 offset0:32 offset1:48
	ds_write2st64_b32 v7, v1, v2 offset0:64 offset1:80
	;; [unrolled: 1-line block ×3, first 2 shown]
	s_waitcnt lgkmcnt(0)
	s_barrier
	s_load_dword s7, s[0:1], 0x0
	s_load_dword s28, s[4:5], 0x68
	s_load_dwordx4 s[64:67], s[4:5], 0x58
	s_mov_b32 s1, 0
	s_waitcnt lgkmcnt(0)
	s_add_i32 s0, s7, s6
	s_lshl_b64 s[0:1], s[0:1], 2
	s_add_u32 s0, s2, s0
	s_addc_u32 s1, s3, s1
	s_load_dword s72, s[0:1], 0x0
	s_bitcmp0_b32 s28, 0
	s_cbranch_scc1 .LBB38_16
; %bb.1:
	s_load_dwordx2 s[0:1], s[4:5], 0x18
	s_waitcnt lgkmcnt(0)
	s_ashr_i32 s73, s72, 31
	s_lshl_b64 s[2:3], s[72:73], 3
	v_lshrrev_b32_e32 v1, 6, v0
	v_subrev_co_u32_e32 v1, vcc, s64, v1
	s_add_u32 s6, s0, s2
	s_addc_u32 s7, s1, s3
	s_load_dwordx4 s[0:3], s[6:7], 0x0
	v_subb_co_u32_e64 v2, s[6:7], 0, 0, vcc
	s_waitcnt lgkmcnt(0)
	s_sub_u32 s6, s2, s64
	v_mov_b32_e32 v3, s1
	v_add_co_u32_e32 v1, vcc, s0, v1
	s_subb_u32 s7, s3, 0
	v_addc_co_u32_e32 v2, vcc, v3, v2, vcc
	v_cmp_gt_i64_e32 vcc, s[6:7], v[1:2]
	s_and_saveexec_b64 s[8:9], vcc
	s_cbranch_execz .LBB38_15
; %bb.2:
	s_load_dwordx4 s[0:3], s[4:5], 0x20
	s_load_dwordx2 s[10:11], s[4:5], 0x30
	v_and_b32_e32 v3, 63, v0
	v_subrev_co_u32_e32 v8, vcc, s65, v3
	v_subb_co_u32_e64 v9, s[12:13], 0, 0, vcc
	s_mov_b32 s29, s65
	s_mov_b64 s[12:13], 0
	s_waitcnt lgkmcnt(0)
	v_mov_b32_e32 v10, s1
	v_mov_b32_e32 v11, s3
	s_movk_i32 s1, 0x89
	s_branch .LBB38_4
.LBB38_3:                               ;   in Loop: Header=BB38_4 Depth=1
	s_or_b64 exec, exec, s[14:15]
	v_add_co_u32_e32 v1, vcc, 16, v1
	v_addc_co_u32_e32 v2, vcc, 0, v2, vcc
	v_cmp_le_i64_e32 vcc, s[6:7], v[1:2]
	s_or_b64 s[12:13], vcc, s[12:13]
	s_andn2_b64 exec, exec, s[12:13]
	s_cbranch_execz .LBB38_15
.LBB38_4:                               ; =>This Loop Header: Depth=1
                                        ;     Child Loop BB38_7 Depth 2
                                        ;       Child Loop BB38_10 Depth 3
	v_lshlrev_b64 v[3:4], 2, v[1:2]
	v_add_co_u32_e32 v3, vcc, s0, v3
	v_addc_co_u32_e32 v4, vcc, v10, v4, vcc
	global_load_dword v3, v[3:4], off
	s_waitcnt vmcnt(0)
	v_subrev_u32_e32 v3, s64, v3
	v_ashrrev_i32_e32 v4, 31, v3
	v_lshlrev_b64 v[3:4], 3, v[3:4]
	v_add_co_u32_e32 v3, vcc, s2, v3
	v_addc_co_u32_e32 v4, vcc, v11, v4, vcc
	global_load_dwordx4 v[12:15], v[3:4], off
	s_waitcnt vmcnt(0)
	v_subrev_co_u32_e32 v3, vcc, s29, v14
	v_subbrev_co_u32_e32 v4, vcc, 0, v15, vcc
	v_add_co_u32_e32 v5, vcc, v12, v8
	v_addc_co_u32_e32 v6, vcc, v13, v9, vcc
	v_cmp_lt_i64_e32 vcc, v[5:6], v[3:4]
	s_and_saveexec_b64 s[14:15], vcc
	s_cbranch_execz .LBB38_3
; %bb.5:                                ;   in Loop: Header=BB38_4 Depth=1
	s_mov_b64 s[16:17], 0
	s_branch .LBB38_7
.LBB38_6:                               ;   in Loop: Header=BB38_7 Depth=2
	s_or_b64 exec, exec, s[18:19]
	v_add_co_u32_e32 v5, vcc, 64, v5
	v_addc_co_u32_e32 v6, vcc, 0, v6, vcc
	v_cmp_ge_i64_e32 vcc, v[5:6], v[3:4]
	s_or_b64 s[16:17], vcc, s[16:17]
	s_andn2_b64 exec, exec, s[16:17]
	s_cbranch_execz .LBB38_3
.LBB38_7:                               ;   Parent Loop BB38_4 Depth=1
                                        ; =>  This Loop Header: Depth=2
                                        ;       Child Loop BB38_10 Depth 3
	v_lshlrev_b64 v[12:13], 2, v[5:6]
	v_mov_b32_e32 v14, s11
	v_add_co_u32_e32 v12, vcc, s10, v12
	v_addc_co_u32_e32 v13, vcc, v14, v13, vcc
	global_load_dword v12, v[12:13], off
	s_mov_b64 s[18:19], 0
                                        ; implicit-def: $sgpr20_sgpr21
	s_waitcnt vmcnt(0)
	v_subrev_u32_e32 v12, s65, v12
	v_mul_lo_u32 v13, v12, s1
	v_and_b32_e32 v13, 0x1fff, v13
	s_branch .LBB38_10
.LBB38_8:                               ;   in Loop: Header=BB38_10 Depth=3
	s_or_b64 exec, exec, s[24:25]
	s_andn2_b64 s[20:21], s[20:21], exec
	s_and_b64 s[24:25], s[26:27], exec
	s_or_b64 s[20:21], s[20:21], s[24:25]
.LBB38_9:                               ;   in Loop: Header=BB38_10 Depth=3
	s_or_b64 exec, exec, s[22:23]
	s_xor_b64 s[22:23], s[20:21], -1
	s_and_b64 s[22:23], exec, s[22:23]
	s_or_b64 s[18:19], s[22:23], s[18:19]
	s_andn2_b64 exec, exec, s[18:19]
	s_cbranch_execz .LBB38_6
.LBB38_10:                              ;   Parent Loop BB38_4 Depth=1
                                        ;     Parent Loop BB38_7 Depth=2
                                        ; =>    This Inner Loop Header: Depth=3
	v_lshl_add_u32 v14, v13, 2, 0
	ds_read_b32 v15, v14
	s_andn2_b64 s[20:21], s[20:21], exec
	s_waitcnt lgkmcnt(0)
	v_cmp_ne_u32_e32 vcc, v15, v12
	s_and_saveexec_b64 s[22:23], vcc
	s_cbranch_execz .LBB38_9
; %bb.11:                               ;   in Loop: Header=BB38_10 Depth=3
	v_cmp_ne_u32_e32 vcc, s33, v15
	s_and_saveexec_b64 s[24:25], vcc
	s_xor_b64 s[24:25], exec, s[24:25]
; %bb.12:                               ;   in Loop: Header=BB38_10 Depth=3
	v_add_u32_e32 v13, 1, v13
	v_and_b32_e32 v13, 0x1fff, v13
                                        ; implicit-def: $vgpr14
; %bb.13:                               ;   in Loop: Header=BB38_10 Depth=3
	s_or_saveexec_b64 s[24:25], s[24:25]
	s_mov_b64 s[26:27], -1
	s_xor_b64 exec, exec, s[24:25]
	s_cbranch_execz .LBB38_8
; %bb.14:                               ;   in Loop: Header=BB38_10 Depth=3
	v_mov_b32_e32 v15, s33
	ds_cmpst_rtn_b32 v14, v14, v15, v12
	s_waitcnt lgkmcnt(0)
	v_cmp_ne_u32_e32 vcc, s33, v14
	s_orn2_b64 s[26:27], vcc, exec
	s_branch .LBB38_8
.LBB38_15:
	s_or_b64 exec, exec, s[8:9]
.LBB38_16:
	s_load_dwordx4 s[68:71], s[4:5], 0x48
	s_bfe_u32 s0, s28, 0x10008
	s_cmp_eq_u32 s0, 0
	s_cbranch_scc1 .LBB38_29
; %bb.17:
	s_load_dwordx2 s[0:1], s[4:5], 0x38
	s_waitcnt lgkmcnt(0)
	s_ashr_i32 s73, s72, 31
	s_lshl_b64 s[2:3], s[72:73], 3
	v_subrev_co_u32_e32 v1, vcc, s67, v0
	s_add_u32 s0, s0, s2
	s_addc_u32 s1, s1, s3
	s_load_dwordx4 s[8:11], s[0:1], 0x0
	v_subb_co_u32_e64 v2, s[0:1], 0, 0, vcc
	s_waitcnt lgkmcnt(0)
	s_sub_u32 s0, s10, s67
	v_mov_b32_e32 v3, s9
	v_add_co_u32_e32 v1, vcc, s8, v1
	s_subb_u32 s1, s11, 0
	v_addc_co_u32_e32 v2, vcc, v3, v2, vcc
	v_cmp_gt_i64_e32 vcc, s[0:1], v[1:2]
	s_and_saveexec_b64 s[2:3], vcc
	s_cbranch_execz .LBB38_28
; %bb.18:
	s_load_dwordx2 s[4:5], s[4:5], 0x40
	s_mov_b64 s[6:7], 0
	s_waitcnt lgkmcnt(0)
	v_mov_b32_e32 v3, s5
	s_movk_i32 s5, 0x89
	s_branch .LBB38_20
.LBB38_19:                              ;   in Loop: Header=BB38_20 Depth=1
	s_or_b64 exec, exec, s[8:9]
	v_add_co_u32_e32 v1, vcc, 0x400, v1
	v_addc_co_u32_e32 v2, vcc, 0, v2, vcc
	v_cmp_le_i64_e32 vcc, s[0:1], v[1:2]
	s_or_b64 s[6:7], vcc, s[6:7]
	s_andn2_b64 exec, exec, s[6:7]
	s_cbranch_execz .LBB38_28
.LBB38_20:                              ; =>This Loop Header: Depth=1
                                        ;     Child Loop BB38_23 Depth 2
	v_lshlrev_b64 v[4:5], 2, v[1:2]
	s_mov_b64 s[8:9], 0
	v_add_co_u32_e32 v4, vcc, s4, v4
	v_addc_co_u32_e32 v5, vcc, v3, v5, vcc
	global_load_dword v4, v[4:5], off
                                        ; implicit-def: $sgpr10_sgpr11
	s_waitcnt vmcnt(0)
	v_subrev_u32_e32 v4, s67, v4
	v_mul_lo_u32 v5, v4, s5
	v_and_b32_e32 v5, 0x1fff, v5
	s_branch .LBB38_23
.LBB38_21:                              ;   in Loop: Header=BB38_23 Depth=2
	s_or_b64 exec, exec, s[14:15]
	s_andn2_b64 s[10:11], s[10:11], exec
	s_and_b64 s[14:15], s[16:17], exec
	s_or_b64 s[10:11], s[10:11], s[14:15]
.LBB38_22:                              ;   in Loop: Header=BB38_23 Depth=2
	s_or_b64 exec, exec, s[12:13]
	s_xor_b64 s[12:13], s[10:11], -1
	s_and_b64 s[12:13], exec, s[12:13]
	s_or_b64 s[8:9], s[12:13], s[8:9]
	s_andn2_b64 exec, exec, s[8:9]
	s_cbranch_execz .LBB38_19
.LBB38_23:                              ;   Parent Loop BB38_20 Depth=1
                                        ; =>  This Inner Loop Header: Depth=2
	v_lshl_add_u32 v6, v5, 2, 0
	ds_read_b32 v8, v6
	s_andn2_b64 s[10:11], s[10:11], exec
	s_waitcnt lgkmcnt(0)
	v_cmp_ne_u32_e32 vcc, v8, v4
	s_and_saveexec_b64 s[12:13], vcc
	s_cbranch_execz .LBB38_22
; %bb.24:                               ;   in Loop: Header=BB38_23 Depth=2
	v_cmp_ne_u32_e32 vcc, s33, v8
	s_and_saveexec_b64 s[14:15], vcc
	s_xor_b64 s[14:15], exec, s[14:15]
; %bb.25:                               ;   in Loop: Header=BB38_23 Depth=2
	v_add_u32_e32 v5, 1, v5
	v_and_b32_e32 v5, 0x1fff, v5
                                        ; implicit-def: $vgpr6
; %bb.26:                               ;   in Loop: Header=BB38_23 Depth=2
	s_or_saveexec_b64 s[14:15], s[14:15]
	s_mov_b64 s[16:17], -1
	s_xor_b64 exec, exec, s[14:15]
	s_cbranch_execz .LBB38_21
; %bb.27:                               ;   in Loop: Header=BB38_23 Depth=2
	v_mov_b32_e32 v8, s33
	ds_cmpst_rtn_b32 v6, v6, v8, v4
	s_waitcnt lgkmcnt(0)
	v_cmp_ne_u32_e32 vcc, s33, v6
	s_orn2_b64 s[16:17], vcc, exec
	s_branch .LBB38_21
.LBB38_28:
	s_or_b64 exec, exec, s[2:3]
.LBB38_29:
	v_mbcnt_lo_u32_b32 v1, -1, 0
	v_mbcnt_hi_u32_b32 v1, -1, v1
	v_sub_u32_e32 v1, 63, v1
	v_lshrrev_b32_e32 v4, 3, v0
	s_movk_i32 s0, 0x3ff
	v_lshrrev_b64 v[1:2], v1, -1
	v_and_b32_e32 v4, 0x7c, v4
	v_cmp_eq_u32_e32 vcc, s0, v0
	s_movk_i32 s0, 0x5f
	s_movk_i32 s2, 0x7f
	s_movk_i32 s4, 0x9f
	s_movk_i32 s6, 0xbf
	s_movk_i32 s8, 0xdf
	s_movk_i32 s10, 0xff
	s_movk_i32 s12, 0x11f
	s_movk_i32 s14, 0x13f
	s_movk_i32 s16, 0x15f
	s_movk_i32 s18, 0x17f
	s_movk_i32 s20, 0x19f
	s_movk_i32 s22, 0x1bf
	s_movk_i32 s24, 0x1df
	s_movk_i32 s26, 0x1ff
	s_movk_i32 s28, 0x21f
	s_movk_i32 s30, 0x23f
	s_movk_i32 s34, 0x25f
	s_movk_i32 s36, 0x27f
	s_movk_i32 s38, 0x29f
	s_movk_i32 s40, 0x2bf
	s_movk_i32 s42, 0x2df
	s_movk_i32 s44, 0x2ff
	s_movk_i32 s46, 0x31f
	s_movk_i32 s48, 0x33f
	s_movk_i32 s50, 0x35f
	s_movk_i32 s52, 0x37f
	s_movk_i32 s54, 0x39f
	s_movk_i32 s56, 0x3bf
	s_movk_i32 s58, 0x3df
	v_mov_b32_e32 v3, 0
	v_add_u32_e32 v4, 0, v4
	v_cmp_lt_u32_e64 s[0:1], s0, v0
	v_cmp_lt_u32_e64 s[2:3], s2, v0
	;; [unrolled: 1-line block ×29, first 2 shown]
	v_or_b32_e32 v5, 0xfffffc00, v0
	v_mov_b32_e32 v6, 0
	s_movk_i32 s67, 0x1bff
	v_cmp_lt_u32_e64 s[60:61], 31, v0
	v_cmp_lt_u32_e64 s[62:63], 63, v0
	s_mov_b64 s[74:75], 0
	s_waitcnt lgkmcnt(0)
	s_barrier
	s_branch .LBB38_31
.LBB38_30:                              ;   in Loop: Header=BB38_31 Depth=1
	s_or_b64 exec, exec, s[64:65]
	s_waitcnt lgkmcnt(0)
	s_barrier
	ds_read_b32 v8, v3 offset:32892
	v_add_u32_e32 v5, 0x400, v5
	v_cmp_lt_u32_e64 s[64:65], s67, v5
	s_or_b64 s[74:75], s[64:65], s[74:75]
	v_add_u32_e32 v7, 0x1000, v7
	s_waitcnt lgkmcnt(0)
	v_add_u32_e32 v6, v8, v6
	s_andn2_b64 exec, exec, s[74:75]
	s_cbranch_execz .LBB38_97
.LBB38_31:                              ; =>This Inner Loop Header: Depth=1
	ds_read_b32 v8, v7
	s_waitcnt lgkmcnt(0)
	s_barrier
	v_cmp_gt_i32_e64 s[64:65], s33, v8
	v_and_b32_e32 v10, s64, v1
	s_bcnt1_i32_b64 s73, s[64:65]
	v_and_b32_e32 v9, s65, v2
	v_bcnt_u32_b32 v10, v10, 0
	v_bcnt_u32_b32 v9, v9, v10
	v_mov_b32_e32 v10, s73
	ds_write_b32 v4, v10 offset:32768
	s_waitcnt lgkmcnt(0)
	s_barrier
	s_and_saveexec_b64 s[76:77], s[60:61]
	s_cbranch_execnz .LBB38_64
; %bb.32:                               ;   in Loop: Header=BB38_31 Depth=1
	s_or_b64 exec, exec, s[76:77]
	s_and_saveexec_b64 s[76:77], s[62:63]
	s_cbranch_execnz .LBB38_65
.LBB38_33:                              ;   in Loop: Header=BB38_31 Depth=1
	s_or_b64 exec, exec, s[76:77]
	s_and_saveexec_b64 s[76:77], s[0:1]
	s_cbranch_execnz .LBB38_66
.LBB38_34:                              ;   in Loop: Header=BB38_31 Depth=1
	s_or_b64 exec, exec, s[76:77]
	s_and_saveexec_b64 s[76:77], s[2:3]
	s_cbranch_execnz .LBB38_67
.LBB38_35:                              ;   in Loop: Header=BB38_31 Depth=1
	s_or_b64 exec, exec, s[76:77]
	s_and_saveexec_b64 s[76:77], s[4:5]
	s_cbranch_execnz .LBB38_68
.LBB38_36:                              ;   in Loop: Header=BB38_31 Depth=1
	s_or_b64 exec, exec, s[76:77]
	s_and_saveexec_b64 s[76:77], s[6:7]
	s_cbranch_execnz .LBB38_69
.LBB38_37:                              ;   in Loop: Header=BB38_31 Depth=1
	s_or_b64 exec, exec, s[76:77]
	s_and_saveexec_b64 s[76:77], s[8:9]
	s_cbranch_execnz .LBB38_70
.LBB38_38:                              ;   in Loop: Header=BB38_31 Depth=1
	s_or_b64 exec, exec, s[76:77]
	s_and_saveexec_b64 s[76:77], s[10:11]
	s_cbranch_execnz .LBB38_71
.LBB38_39:                              ;   in Loop: Header=BB38_31 Depth=1
	s_or_b64 exec, exec, s[76:77]
	s_and_saveexec_b64 s[76:77], s[12:13]
	s_cbranch_execnz .LBB38_72
.LBB38_40:                              ;   in Loop: Header=BB38_31 Depth=1
	s_or_b64 exec, exec, s[76:77]
	s_and_saveexec_b64 s[76:77], s[14:15]
	s_cbranch_execnz .LBB38_73
.LBB38_41:                              ;   in Loop: Header=BB38_31 Depth=1
	s_or_b64 exec, exec, s[76:77]
	s_and_saveexec_b64 s[76:77], s[16:17]
	s_cbranch_execnz .LBB38_74
.LBB38_42:                              ;   in Loop: Header=BB38_31 Depth=1
	s_or_b64 exec, exec, s[76:77]
	s_and_saveexec_b64 s[76:77], s[18:19]
	s_cbranch_execnz .LBB38_75
.LBB38_43:                              ;   in Loop: Header=BB38_31 Depth=1
	s_or_b64 exec, exec, s[76:77]
	s_and_saveexec_b64 s[76:77], s[20:21]
	s_cbranch_execnz .LBB38_76
.LBB38_44:                              ;   in Loop: Header=BB38_31 Depth=1
	s_or_b64 exec, exec, s[76:77]
	s_and_saveexec_b64 s[76:77], s[22:23]
	s_cbranch_execnz .LBB38_77
.LBB38_45:                              ;   in Loop: Header=BB38_31 Depth=1
	s_or_b64 exec, exec, s[76:77]
	s_and_saveexec_b64 s[76:77], s[24:25]
	s_cbranch_execnz .LBB38_78
.LBB38_46:                              ;   in Loop: Header=BB38_31 Depth=1
	s_or_b64 exec, exec, s[76:77]
	s_and_saveexec_b64 s[76:77], s[26:27]
	s_cbranch_execnz .LBB38_79
.LBB38_47:                              ;   in Loop: Header=BB38_31 Depth=1
	s_or_b64 exec, exec, s[76:77]
	s_and_saveexec_b64 s[76:77], s[28:29]
	s_cbranch_execnz .LBB38_80
.LBB38_48:                              ;   in Loop: Header=BB38_31 Depth=1
	s_or_b64 exec, exec, s[76:77]
	s_and_saveexec_b64 s[76:77], s[30:31]
	s_cbranch_execnz .LBB38_81
.LBB38_49:                              ;   in Loop: Header=BB38_31 Depth=1
	s_or_b64 exec, exec, s[76:77]
	s_and_saveexec_b64 s[76:77], s[34:35]
	s_cbranch_execnz .LBB38_82
.LBB38_50:                              ;   in Loop: Header=BB38_31 Depth=1
	s_or_b64 exec, exec, s[76:77]
	s_and_saveexec_b64 s[76:77], s[36:37]
	s_cbranch_execnz .LBB38_83
.LBB38_51:                              ;   in Loop: Header=BB38_31 Depth=1
	s_or_b64 exec, exec, s[76:77]
	s_and_saveexec_b64 s[76:77], s[38:39]
	s_cbranch_execnz .LBB38_84
.LBB38_52:                              ;   in Loop: Header=BB38_31 Depth=1
	s_or_b64 exec, exec, s[76:77]
	s_and_saveexec_b64 s[76:77], s[40:41]
	s_cbranch_execnz .LBB38_85
.LBB38_53:                              ;   in Loop: Header=BB38_31 Depth=1
	s_or_b64 exec, exec, s[76:77]
	s_and_saveexec_b64 s[76:77], s[42:43]
	s_cbranch_execnz .LBB38_86
.LBB38_54:                              ;   in Loop: Header=BB38_31 Depth=1
	s_or_b64 exec, exec, s[76:77]
	s_and_saveexec_b64 s[76:77], s[44:45]
	s_cbranch_execnz .LBB38_87
.LBB38_55:                              ;   in Loop: Header=BB38_31 Depth=1
	s_or_b64 exec, exec, s[76:77]
	s_and_saveexec_b64 s[76:77], s[46:47]
	s_cbranch_execnz .LBB38_88
.LBB38_56:                              ;   in Loop: Header=BB38_31 Depth=1
	s_or_b64 exec, exec, s[76:77]
	s_and_saveexec_b64 s[76:77], s[48:49]
	s_cbranch_execnz .LBB38_89
.LBB38_57:                              ;   in Loop: Header=BB38_31 Depth=1
	s_or_b64 exec, exec, s[76:77]
	s_and_saveexec_b64 s[76:77], s[50:51]
	s_cbranch_execnz .LBB38_90
.LBB38_58:                              ;   in Loop: Header=BB38_31 Depth=1
	s_or_b64 exec, exec, s[76:77]
	s_and_saveexec_b64 s[76:77], s[52:53]
	s_cbranch_execnz .LBB38_91
.LBB38_59:                              ;   in Loop: Header=BB38_31 Depth=1
	s_or_b64 exec, exec, s[76:77]
	s_and_saveexec_b64 s[76:77], s[54:55]
	s_cbranch_execnz .LBB38_92
.LBB38_60:                              ;   in Loop: Header=BB38_31 Depth=1
	s_or_b64 exec, exec, s[76:77]
	s_and_saveexec_b64 s[76:77], s[56:57]
	s_cbranch_execnz .LBB38_93
.LBB38_61:                              ;   in Loop: Header=BB38_31 Depth=1
	s_or_b64 exec, exec, s[76:77]
	s_and_saveexec_b64 s[76:77], s[58:59]
	s_cbranch_execnz .LBB38_94
.LBB38_62:                              ;   in Loop: Header=BB38_31 Depth=1
	s_or_b64 exec, exec, s[76:77]
	s_and_saveexec_b64 s[76:77], s[64:65]
	s_cbranch_execnz .LBB38_95
.LBB38_63:                              ;   in Loop: Header=BB38_31 Depth=1
	s_or_b64 exec, exec, s[76:77]
	s_and_saveexec_b64 s[64:65], vcc
	s_cbranch_execz .LBB38_30
	s_branch .LBB38_96
.LBB38_64:                              ;   in Loop: Header=BB38_31 Depth=1
	ds_read_b32 v10, v3 offset:32768
	s_waitcnt lgkmcnt(0)
	v_add_u32_e32 v9, v10, v9
	s_or_b64 exec, exec, s[76:77]
	s_and_saveexec_b64 s[76:77], s[62:63]
	s_cbranch_execz .LBB38_33
.LBB38_65:                              ;   in Loop: Header=BB38_31 Depth=1
	ds_read_b32 v10, v3 offset:32772
	s_waitcnt lgkmcnt(0)
	v_add_u32_e32 v9, v10, v9
	s_or_b64 exec, exec, s[76:77]
	s_and_saveexec_b64 s[76:77], s[0:1]
	s_cbranch_execz .LBB38_34
.LBB38_66:                              ;   in Loop: Header=BB38_31 Depth=1
	ds_read_b32 v10, v3 offset:32776
	s_waitcnt lgkmcnt(0)
	v_add_u32_e32 v9, v10, v9
	s_or_b64 exec, exec, s[76:77]
	s_and_saveexec_b64 s[76:77], s[2:3]
	s_cbranch_execz .LBB38_35
.LBB38_67:                              ;   in Loop: Header=BB38_31 Depth=1
	ds_read_b32 v10, v3 offset:32780
	s_waitcnt lgkmcnt(0)
	v_add_u32_e32 v9, v10, v9
	s_or_b64 exec, exec, s[76:77]
	s_and_saveexec_b64 s[76:77], s[4:5]
	s_cbranch_execz .LBB38_36
.LBB38_68:                              ;   in Loop: Header=BB38_31 Depth=1
	ds_read_b32 v10, v3 offset:32784
	s_waitcnt lgkmcnt(0)
	v_add_u32_e32 v9, v10, v9
	s_or_b64 exec, exec, s[76:77]
	s_and_saveexec_b64 s[76:77], s[6:7]
	s_cbranch_execz .LBB38_37
.LBB38_69:                              ;   in Loop: Header=BB38_31 Depth=1
	ds_read_b32 v10, v3 offset:32788
	s_waitcnt lgkmcnt(0)
	v_add_u32_e32 v9, v10, v9
	s_or_b64 exec, exec, s[76:77]
	s_and_saveexec_b64 s[76:77], s[8:9]
	s_cbranch_execz .LBB38_38
.LBB38_70:                              ;   in Loop: Header=BB38_31 Depth=1
	ds_read_b32 v10, v3 offset:32792
	s_waitcnt lgkmcnt(0)
	v_add_u32_e32 v9, v10, v9
	s_or_b64 exec, exec, s[76:77]
	s_and_saveexec_b64 s[76:77], s[10:11]
	s_cbranch_execz .LBB38_39
.LBB38_71:                              ;   in Loop: Header=BB38_31 Depth=1
	ds_read_b32 v10, v3 offset:32796
	s_waitcnt lgkmcnt(0)
	v_add_u32_e32 v9, v10, v9
	s_or_b64 exec, exec, s[76:77]
	s_and_saveexec_b64 s[76:77], s[12:13]
	s_cbranch_execz .LBB38_40
.LBB38_72:                              ;   in Loop: Header=BB38_31 Depth=1
	ds_read_b32 v10, v3 offset:32800
	s_waitcnt lgkmcnt(0)
	v_add_u32_e32 v9, v10, v9
	s_or_b64 exec, exec, s[76:77]
	s_and_saveexec_b64 s[76:77], s[14:15]
	s_cbranch_execz .LBB38_41
.LBB38_73:                              ;   in Loop: Header=BB38_31 Depth=1
	ds_read_b32 v10, v3 offset:32804
	s_waitcnt lgkmcnt(0)
	v_add_u32_e32 v9, v10, v9
	s_or_b64 exec, exec, s[76:77]
	s_and_saveexec_b64 s[76:77], s[16:17]
	s_cbranch_execz .LBB38_42
.LBB38_74:                              ;   in Loop: Header=BB38_31 Depth=1
	ds_read_b32 v10, v3 offset:32808
	s_waitcnt lgkmcnt(0)
	v_add_u32_e32 v9, v10, v9
	s_or_b64 exec, exec, s[76:77]
	s_and_saveexec_b64 s[76:77], s[18:19]
	s_cbranch_execz .LBB38_43
.LBB38_75:                              ;   in Loop: Header=BB38_31 Depth=1
	ds_read_b32 v10, v3 offset:32812
	s_waitcnt lgkmcnt(0)
	v_add_u32_e32 v9, v10, v9
	s_or_b64 exec, exec, s[76:77]
	s_and_saveexec_b64 s[76:77], s[20:21]
	s_cbranch_execz .LBB38_44
.LBB38_76:                              ;   in Loop: Header=BB38_31 Depth=1
	ds_read_b32 v10, v3 offset:32816
	s_waitcnt lgkmcnt(0)
	v_add_u32_e32 v9, v10, v9
	s_or_b64 exec, exec, s[76:77]
	s_and_saveexec_b64 s[76:77], s[22:23]
	s_cbranch_execz .LBB38_45
.LBB38_77:                              ;   in Loop: Header=BB38_31 Depth=1
	ds_read_b32 v10, v3 offset:32820
	s_waitcnt lgkmcnt(0)
	v_add_u32_e32 v9, v10, v9
	s_or_b64 exec, exec, s[76:77]
	s_and_saveexec_b64 s[76:77], s[24:25]
	s_cbranch_execz .LBB38_46
.LBB38_78:                              ;   in Loop: Header=BB38_31 Depth=1
	ds_read_b32 v10, v3 offset:32824
	s_waitcnt lgkmcnt(0)
	v_add_u32_e32 v9, v10, v9
	s_or_b64 exec, exec, s[76:77]
	s_and_saveexec_b64 s[76:77], s[26:27]
	s_cbranch_execz .LBB38_47
.LBB38_79:                              ;   in Loop: Header=BB38_31 Depth=1
	ds_read_b32 v10, v3 offset:32828
	s_waitcnt lgkmcnt(0)
	v_add_u32_e32 v9, v10, v9
	s_or_b64 exec, exec, s[76:77]
	s_and_saveexec_b64 s[76:77], s[28:29]
	s_cbranch_execz .LBB38_48
.LBB38_80:                              ;   in Loop: Header=BB38_31 Depth=1
	ds_read_b32 v10, v3 offset:32832
	s_waitcnt lgkmcnt(0)
	v_add_u32_e32 v9, v10, v9
	s_or_b64 exec, exec, s[76:77]
	s_and_saveexec_b64 s[76:77], s[30:31]
	s_cbranch_execz .LBB38_49
.LBB38_81:                              ;   in Loop: Header=BB38_31 Depth=1
	ds_read_b32 v10, v3 offset:32836
	s_waitcnt lgkmcnt(0)
	v_add_u32_e32 v9, v10, v9
	s_or_b64 exec, exec, s[76:77]
	s_and_saveexec_b64 s[76:77], s[34:35]
	s_cbranch_execz .LBB38_50
.LBB38_82:                              ;   in Loop: Header=BB38_31 Depth=1
	ds_read_b32 v10, v3 offset:32840
	s_waitcnt lgkmcnt(0)
	v_add_u32_e32 v9, v10, v9
	s_or_b64 exec, exec, s[76:77]
	s_and_saveexec_b64 s[76:77], s[36:37]
	s_cbranch_execz .LBB38_51
.LBB38_83:                              ;   in Loop: Header=BB38_31 Depth=1
	ds_read_b32 v10, v3 offset:32844
	s_waitcnt lgkmcnt(0)
	v_add_u32_e32 v9, v10, v9
	s_or_b64 exec, exec, s[76:77]
	s_and_saveexec_b64 s[76:77], s[38:39]
	s_cbranch_execz .LBB38_52
.LBB38_84:                              ;   in Loop: Header=BB38_31 Depth=1
	ds_read_b32 v10, v3 offset:32848
	s_waitcnt lgkmcnt(0)
	v_add_u32_e32 v9, v10, v9
	s_or_b64 exec, exec, s[76:77]
	s_and_saveexec_b64 s[76:77], s[40:41]
	s_cbranch_execz .LBB38_53
.LBB38_85:                              ;   in Loop: Header=BB38_31 Depth=1
	ds_read_b32 v10, v3 offset:32852
	s_waitcnt lgkmcnt(0)
	v_add_u32_e32 v9, v10, v9
	s_or_b64 exec, exec, s[76:77]
	s_and_saveexec_b64 s[76:77], s[42:43]
	s_cbranch_execz .LBB38_54
.LBB38_86:                              ;   in Loop: Header=BB38_31 Depth=1
	ds_read_b32 v10, v3 offset:32856
	s_waitcnt lgkmcnt(0)
	v_add_u32_e32 v9, v10, v9
	s_or_b64 exec, exec, s[76:77]
	s_and_saveexec_b64 s[76:77], s[44:45]
	s_cbranch_execz .LBB38_55
.LBB38_87:                              ;   in Loop: Header=BB38_31 Depth=1
	ds_read_b32 v10, v3 offset:32860
	s_waitcnt lgkmcnt(0)
	v_add_u32_e32 v9, v10, v9
	s_or_b64 exec, exec, s[76:77]
	s_and_saveexec_b64 s[76:77], s[46:47]
	s_cbranch_execz .LBB38_56
.LBB38_88:                              ;   in Loop: Header=BB38_31 Depth=1
	ds_read_b32 v10, v3 offset:32864
	s_waitcnt lgkmcnt(0)
	v_add_u32_e32 v9, v10, v9
	s_or_b64 exec, exec, s[76:77]
	s_and_saveexec_b64 s[76:77], s[48:49]
	s_cbranch_execz .LBB38_57
.LBB38_89:                              ;   in Loop: Header=BB38_31 Depth=1
	ds_read_b32 v10, v3 offset:32868
	s_waitcnt lgkmcnt(0)
	v_add_u32_e32 v9, v10, v9
	s_or_b64 exec, exec, s[76:77]
	s_and_saveexec_b64 s[76:77], s[50:51]
	s_cbranch_execz .LBB38_58
.LBB38_90:                              ;   in Loop: Header=BB38_31 Depth=1
	ds_read_b32 v10, v3 offset:32872
	s_waitcnt lgkmcnt(0)
	v_add_u32_e32 v9, v10, v9
	s_or_b64 exec, exec, s[76:77]
	s_and_saveexec_b64 s[76:77], s[52:53]
	s_cbranch_execz .LBB38_59
.LBB38_91:                              ;   in Loop: Header=BB38_31 Depth=1
	ds_read_b32 v10, v3 offset:32876
	s_waitcnt lgkmcnt(0)
	v_add_u32_e32 v9, v10, v9
	s_or_b64 exec, exec, s[76:77]
	s_and_saveexec_b64 s[76:77], s[54:55]
	s_cbranch_execz .LBB38_60
.LBB38_92:                              ;   in Loop: Header=BB38_31 Depth=1
	ds_read_b32 v10, v3 offset:32880
	s_waitcnt lgkmcnt(0)
	v_add_u32_e32 v9, v10, v9
	s_or_b64 exec, exec, s[76:77]
	s_and_saveexec_b64 s[76:77], s[56:57]
	s_cbranch_execz .LBB38_61
.LBB38_93:                              ;   in Loop: Header=BB38_31 Depth=1
	ds_read_b32 v10, v3 offset:32884
	s_waitcnt lgkmcnt(0)
	v_add_u32_e32 v9, v10, v9
	s_or_b64 exec, exec, s[76:77]
	s_and_saveexec_b64 s[76:77], s[58:59]
	s_cbranch_execz .LBB38_62
.LBB38_94:                              ;   in Loop: Header=BB38_31 Depth=1
	ds_read_b32 v10, v3 offset:32888
	s_waitcnt lgkmcnt(0)
	v_add_u32_e32 v9, v10, v9
	s_or_b64 exec, exec, s[76:77]
	s_and_saveexec_b64 s[76:77], s[64:65]
	s_cbranch_execz .LBB38_63
.LBB38_95:                              ;   in Loop: Header=BB38_31 Depth=1
	v_lshlrev_b32_e32 v10, 2, v6
	v_add_u32_e32 v10, 0, v10
	v_lshlrev_b32_e32 v11, 2, v9
	v_add3_u32 v10, v10, v11, -4
	ds_write_b32 v10, v8
	s_or_b64 exec, exec, s[76:77]
	s_and_saveexec_b64 s[64:65], vcc
	s_cbranch_execz .LBB38_30
.LBB38_96:                              ;   in Loop: Header=BB38_31 Depth=1
	ds_write_b32 v3, v9 offset:32892
	s_branch .LBB38_30
.LBB38_97:
	s_or_b64 exec, exec, s[74:75]
	s_ashr_i32 s73, s72, 31
	s_lshl_b64 s[0:1], s[72:73], 3
	s_add_u32 s4, s68, s0
	s_addc_u32 s5, s69, s1
	s_load_dwordx4 s[0:3], s[4:5], 0x0
	s_waitcnt lgkmcnt(0)
	s_sub_i32 s8, s2, s0
	v_cmp_gt_i32_e32 vcc, s8, v0
	s_and_saveexec_b64 s[4:5], vcc
	s_cbranch_execz .LBB38_107
; %bb.98:
	s_sub_u32 s4, s0, s66
	s_subb_u32 s5, s1, 0
	s_and_b32 s9, s8, 7
	s_sub_i32 s0, s0, s2
	s_cmp_lt_u32 s0, -7
	s_cselect_b64 s[0:1], -1, 0
	s_and_b32 s10, s8, -8
	s_cmp_lg_u32 s9, 0
	v_cndmask_b32_e64 v1, 0, 1, s[0:1]
	s_mov_b64 s[2:3], 0
	s_cselect_b64 s[6:7], -1, 0
	v_cmp_ne_u32_e64 s[0:1], 1, v1
	s_branch .LBB38_100
.LBB38_99:                              ;   in Loop: Header=BB38_100 Depth=1
	v_lshlrev_b64 v[1:2], 2, v[1:2]
	v_mov_b32_e32 v4, s71
	v_add_co_u32_e32 v1, vcc, s70, v1
	v_addc_co_u32_e32 v2, vcc, v4, v2, vcc
	v_add_u32_e32 v0, 0x400, v0
	v_cmp_le_i32_e32 vcc, s8, v0
	s_waitcnt lgkmcnt(0)
	v_add_u32_e32 v3, s66, v3
	s_or_b64 s[2:3], vcc, s[2:3]
	global_store_dword v[1:2], v3, off
	s_andn2_b64 exec, exec, s[2:3]
	s_cbranch_execz .LBB38_107
.LBB38_100:                             ; =>This Loop Header: Depth=1
                                        ;     Child Loop BB38_102 Depth 2
                                        ;     Child Loop BB38_106 Depth 2
	v_lshl_add_u32 v1, v0, 2, 0
	ds_read_b32 v3, v1
	v_mov_b32_e32 v1, s4
	s_and_b64 vcc, exec, s[0:1]
	v_mov_b32_e32 v2, s5
	s_mov_b32 s11, 0
	s_cbranch_vccnz .LBB38_104
; %bb.101:                              ;   in Loop: Header=BB38_100 Depth=1
	v_mov_b32_e32 v1, s4
	s_mov_b32 s12, 0
	v_mov_b32_e32 v2, s5
.LBB38_102:                             ;   Parent Loop BB38_100 Depth=1
                                        ; =>  This Inner Loop Header: Depth=2
	v_mov_b32_e32 v10, s12
	ds_read2_b32 v[4:5], v10 offset1:1
	ds_read2_b32 v[6:7], v10 offset0:2 offset1:3
	ds_read2_b32 v[8:9], v10 offset0:4 offset1:5
	;; [unrolled: 1-line block ×3, first 2 shown]
	s_add_i32 s11, s11, 8
	s_waitcnt lgkmcnt(3)
	v_cmp_gt_i32_e32 vcc, v3, v4
	v_cndmask_b32_e64 v4, 0, 1, vcc
	v_cmp_gt_i32_e32 vcc, v3, v5
	v_cndmask_b32_e64 v5, 0, 1, vcc
	s_waitcnt lgkmcnt(2)
	v_cmp_gt_i32_e32 vcc, v3, v6
	v_cndmask_b32_e64 v6, 0, 1, vcc
	v_cmp_gt_i32_e32 vcc, v3, v7
	v_cndmask_b32_e64 v7, 0, 1, vcc
	;; [unrolled: 5-line block ×4, first 2 shown]
	v_add_co_u32_e32 v1, vcc, v1, v4
	v_addc_co_u32_e32 v2, vcc, 0, v2, vcc
	v_add_co_u32_e32 v1, vcc, v1, v5
	v_addc_co_u32_e32 v2, vcc, 0, v2, vcc
	;; [unrolled: 2-line block ×7, first 2 shown]
	s_add_i32 s12, s12, 32
	v_add_co_u32_e32 v1, vcc, v1, v11
	s_cmp_eq_u32 s10, s11
	v_addc_co_u32_e32 v2, vcc, 0, v2, vcc
	s_cbranch_scc0 .LBB38_102
; %bb.103:                              ;   in Loop: Header=BB38_100 Depth=1
	s_mov_b32 s11, s10
.LBB38_104:                             ;   in Loop: Header=BB38_100 Depth=1
	s_andn2_b64 vcc, exec, s[6:7]
	s_cbranch_vccnz .LBB38_99
; %bb.105:                              ;   in Loop: Header=BB38_100 Depth=1
	s_lshl_b32 s11, s11, 2
	s_add_i32 s11, s11, 0
	s_mov_b32 s12, s9
.LBB38_106:                             ;   Parent Loop BB38_100 Depth=1
                                        ; =>  This Inner Loop Header: Depth=2
	v_mov_b32_e32 v4, s11
	ds_read_b32 v4, v4
	s_add_i32 s11, s11, 4
	s_add_i32 s12, s12, -1
	s_cmp_lg_u32 s12, 0
	s_waitcnt lgkmcnt(0)
	v_cmp_gt_i32_e32 vcc, v3, v4
	v_cndmask_b32_e64 v4, 0, 1, vcc
	v_add_co_u32_e32 v1, vcc, v1, v4
	v_addc_co_u32_e32 v2, vcc, 0, v2, vcc
	s_cbranch_scc1 .LBB38_106
	s_branch .LBB38_99
.LBB38_107:
	s_endpgm
	.section	.rodata,"a",@progbits
	.p2align	6, 0x0
	.amdhsa_kernel _ZN9rocsparseL35csrgemm_symbolic_fill_block_per_rowILj1024ELj64ELj8192ELj137ELj32EliEEvT5_PKS1_S3_PKT4_S3_S6_S3_S6_S3_S6_PS1_21rocsparse_index_base_S8_S8_S8_bb
		.amdhsa_group_segment_fixed_size 0
		.amdhsa_private_segment_fixed_size 0
		.amdhsa_kernarg_size 108
		.amdhsa_user_sgpr_count 6
		.amdhsa_user_sgpr_private_segment_buffer 1
		.amdhsa_user_sgpr_dispatch_ptr 0
		.amdhsa_user_sgpr_queue_ptr 0
		.amdhsa_user_sgpr_kernarg_segment_ptr 1
		.amdhsa_user_sgpr_dispatch_id 0
		.amdhsa_user_sgpr_flat_scratch_init 0
		.amdhsa_user_sgpr_private_segment_size 0
		.amdhsa_uses_dynamic_stack 0
		.amdhsa_system_sgpr_private_segment_wavefront_offset 0
		.amdhsa_system_sgpr_workgroup_id_x 1
		.amdhsa_system_sgpr_workgroup_id_y 0
		.amdhsa_system_sgpr_workgroup_id_z 0
		.amdhsa_system_sgpr_workgroup_info 0
		.amdhsa_system_vgpr_workitem_id 0
		.amdhsa_next_free_vgpr 16
		.amdhsa_next_free_sgpr 78
		.amdhsa_reserve_vcc 1
		.amdhsa_reserve_flat_scratch 0
		.amdhsa_float_round_mode_32 0
		.amdhsa_float_round_mode_16_64 0
		.amdhsa_float_denorm_mode_32 3
		.amdhsa_float_denorm_mode_16_64 3
		.amdhsa_dx10_clamp 1
		.amdhsa_ieee_mode 1
		.amdhsa_fp16_overflow 0
		.amdhsa_exception_fp_ieee_invalid_op 0
		.amdhsa_exception_fp_denorm_src 0
		.amdhsa_exception_fp_ieee_div_zero 0
		.amdhsa_exception_fp_ieee_overflow 0
		.amdhsa_exception_fp_ieee_underflow 0
		.amdhsa_exception_fp_ieee_inexact 0
		.amdhsa_exception_int_div_zero 0
	.end_amdhsa_kernel
	.section	.text._ZN9rocsparseL35csrgemm_symbolic_fill_block_per_rowILj1024ELj64ELj8192ELj137ELj32EliEEvT5_PKS1_S3_PKT4_S3_S6_S3_S6_S3_S6_PS1_21rocsparse_index_base_S8_S8_S8_bb,"axG",@progbits,_ZN9rocsparseL35csrgemm_symbolic_fill_block_per_rowILj1024ELj64ELj8192ELj137ELj32EliEEvT5_PKS1_S3_PKT4_S3_S6_S3_S6_S3_S6_PS1_21rocsparse_index_base_S8_S8_S8_bb,comdat
.Lfunc_end38:
	.size	_ZN9rocsparseL35csrgemm_symbolic_fill_block_per_rowILj1024ELj64ELj8192ELj137ELj32EliEEvT5_PKS1_S3_PKT4_S3_S6_S3_S6_S3_S6_PS1_21rocsparse_index_base_S8_S8_S8_bb, .Lfunc_end38-_ZN9rocsparseL35csrgemm_symbolic_fill_block_per_rowILj1024ELj64ELj8192ELj137ELj32EliEEvT5_PKS1_S3_PKT4_S3_S6_S3_S6_S3_S6_PS1_21rocsparse_index_base_S8_S8_S8_bb
                                        ; -- End function
	.set _ZN9rocsparseL35csrgemm_symbolic_fill_block_per_rowILj1024ELj64ELj8192ELj137ELj32EliEEvT5_PKS1_S3_PKT4_S3_S6_S3_S6_S3_S6_PS1_21rocsparse_index_base_S8_S8_S8_bb.num_vgpr, 16
	.set _ZN9rocsparseL35csrgemm_symbolic_fill_block_per_rowILj1024ELj64ELj8192ELj137ELj32EliEEvT5_PKS1_S3_PKT4_S3_S6_S3_S6_S3_S6_PS1_21rocsparse_index_base_S8_S8_S8_bb.num_agpr, 0
	.set _ZN9rocsparseL35csrgemm_symbolic_fill_block_per_rowILj1024ELj64ELj8192ELj137ELj32EliEEvT5_PKS1_S3_PKT4_S3_S6_S3_S6_S3_S6_PS1_21rocsparse_index_base_S8_S8_S8_bb.numbered_sgpr, 78
	.set _ZN9rocsparseL35csrgemm_symbolic_fill_block_per_rowILj1024ELj64ELj8192ELj137ELj32EliEEvT5_PKS1_S3_PKT4_S3_S6_S3_S6_S3_S6_PS1_21rocsparse_index_base_S8_S8_S8_bb.num_named_barrier, 0
	.set _ZN9rocsparseL35csrgemm_symbolic_fill_block_per_rowILj1024ELj64ELj8192ELj137ELj32EliEEvT5_PKS1_S3_PKT4_S3_S6_S3_S6_S3_S6_PS1_21rocsparse_index_base_S8_S8_S8_bb.private_seg_size, 0
	.set _ZN9rocsparseL35csrgemm_symbolic_fill_block_per_rowILj1024ELj64ELj8192ELj137ELj32EliEEvT5_PKS1_S3_PKT4_S3_S6_S3_S6_S3_S6_PS1_21rocsparse_index_base_S8_S8_S8_bb.uses_vcc, 1
	.set _ZN9rocsparseL35csrgemm_symbolic_fill_block_per_rowILj1024ELj64ELj8192ELj137ELj32EliEEvT5_PKS1_S3_PKT4_S3_S6_S3_S6_S3_S6_PS1_21rocsparse_index_base_S8_S8_S8_bb.uses_flat_scratch, 0
	.set _ZN9rocsparseL35csrgemm_symbolic_fill_block_per_rowILj1024ELj64ELj8192ELj137ELj32EliEEvT5_PKS1_S3_PKT4_S3_S6_S3_S6_S3_S6_PS1_21rocsparse_index_base_S8_S8_S8_bb.has_dyn_sized_stack, 0
	.set _ZN9rocsparseL35csrgemm_symbolic_fill_block_per_rowILj1024ELj64ELj8192ELj137ELj32EliEEvT5_PKS1_S3_PKT4_S3_S6_S3_S6_S3_S6_PS1_21rocsparse_index_base_S8_S8_S8_bb.has_recursion, 0
	.set _ZN9rocsparseL35csrgemm_symbolic_fill_block_per_rowILj1024ELj64ELj8192ELj137ELj32EliEEvT5_PKS1_S3_PKT4_S3_S6_S3_S6_S3_S6_PS1_21rocsparse_index_base_S8_S8_S8_bb.has_indirect_call, 0
	.section	.AMDGPU.csdata,"",@progbits
; Kernel info:
; codeLenInByte = 3456
; TotalNumSgprs: 82
; NumVgprs: 16
; ScratchSize: 0
; MemoryBound: 0
; FloatMode: 240
; IeeeMode: 1
; LDSByteSize: 0 bytes/workgroup (compile time only)
; SGPRBlocks: 10
; VGPRBlocks: 3
; NumSGPRsForWavesPerEU: 82
; NumVGPRsForWavesPerEU: 16
; Occupancy: 9
; WaveLimiterHint : 1
; COMPUTE_PGM_RSRC2:SCRATCH_EN: 0
; COMPUTE_PGM_RSRC2:USER_SGPR: 6
; COMPUTE_PGM_RSRC2:TRAP_HANDLER: 0
; COMPUTE_PGM_RSRC2:TGID_X_EN: 1
; COMPUTE_PGM_RSRC2:TGID_Y_EN: 0
; COMPUTE_PGM_RSRC2:TGID_Z_EN: 0
; COMPUTE_PGM_RSRC2:TIDIG_COMP_CNT: 0
	.section	.text._ZN9rocsparseL35csrgemm_symbolic_fill_block_per_rowILj1024ELj64ELj8192ELj137ELj64EliEEvT5_PKS1_S3_PKT4_S3_S6_S3_S6_S3_S6_PS1_21rocsparse_index_base_S8_S8_S8_bb,"axG",@progbits,_ZN9rocsparseL35csrgemm_symbolic_fill_block_per_rowILj1024ELj64ELj8192ELj137ELj64EliEEvT5_PKS1_S3_PKT4_S3_S6_S3_S6_S3_S6_PS1_21rocsparse_index_base_S8_S8_S8_bb,comdat
	.globl	_ZN9rocsparseL35csrgemm_symbolic_fill_block_per_rowILj1024ELj64ELj8192ELj137ELj64EliEEvT5_PKS1_S3_PKT4_S3_S6_S3_S6_S3_S6_PS1_21rocsparse_index_base_S8_S8_S8_bb ; -- Begin function _ZN9rocsparseL35csrgemm_symbolic_fill_block_per_rowILj1024ELj64ELj8192ELj137ELj64EliEEvT5_PKS1_S3_PKT4_S3_S6_S3_S6_S3_S6_PS1_21rocsparse_index_base_S8_S8_S8_bb
	.p2align	8
	.type	_ZN9rocsparseL35csrgemm_symbolic_fill_block_per_rowILj1024ELj64ELj8192ELj137ELj64EliEEvT5_PKS1_S3_PKT4_S3_S6_S3_S6_S3_S6_PS1_21rocsparse_index_base_S8_S8_S8_bb,@function
_ZN9rocsparseL35csrgemm_symbolic_fill_block_per_rowILj1024ELj64ELj8192ELj137ELj64EliEEvT5_PKS1_S3_PKT4_S3_S6_S3_S6_S3_S6_PS1_21rocsparse_index_base_S8_S8_S8_bb: ; @_ZN9rocsparseL35csrgemm_symbolic_fill_block_per_rowILj1024ELj64ELj8192ELj137ELj64EliEEvT5_PKS1_S3_PKT4_S3_S6_S3_S6_S3_S6_PS1_21rocsparse_index_base_S8_S8_S8_bb
; %bb.0:
	s_load_dword s33, s[4:5], 0x0
	s_load_dwordx4 s[0:3], s[4:5], 0x8
	v_lshl_add_u32 v7, v0, 2, 0
	v_lshrrev_b32_e32 v8, 6, v0
	s_waitcnt lgkmcnt(0)
	v_mov_b32_e32 v1, s33
	v_mov_b32_e32 v2, s33
	ds_write2st64_b32 v7, v1, v2 offset1:16
	ds_write2st64_b32 v7, v1, v2 offset0:32 offset1:48
	ds_write2st64_b32 v7, v1, v2 offset0:64 offset1:80
	;; [unrolled: 1-line block ×3, first 2 shown]
	s_waitcnt lgkmcnt(0)
	s_barrier
	s_load_dword s7, s[0:1], 0x0
	s_load_dword s28, s[4:5], 0x68
	s_load_dwordx4 s[36:39], s[4:5], 0x58
	s_mov_b32 s1, 0
	s_waitcnt lgkmcnt(0)
	s_add_i32 s0, s7, s6
	s_lshl_b64 s[0:1], s[0:1], 2
	s_add_u32 s0, s2, s0
	s_addc_u32 s1, s3, s1
	s_load_dword s34, s[0:1], 0x0
	s_bitcmp0_b32 s28, 0
	s_cbranch_scc1 .LBB39_16
; %bb.1:
	s_load_dwordx2 s[0:1], s[4:5], 0x18
	s_waitcnt lgkmcnt(0)
	s_ashr_i32 s35, s34, 31
	s_lshl_b64 s[2:3], s[34:35], 3
	v_subrev_co_u32_e32 v1, vcc, s36, v8
	s_add_u32 s6, s0, s2
	s_addc_u32 s7, s1, s3
	s_load_dwordx4 s[0:3], s[6:7], 0x0
	v_subb_co_u32_e64 v2, s[6:7], 0, 0, vcc
	s_waitcnt lgkmcnt(0)
	s_sub_u32 s6, s2, s36
	v_mov_b32_e32 v3, s1
	v_add_co_u32_e32 v1, vcc, s0, v1
	s_subb_u32 s7, s3, 0
	v_addc_co_u32_e32 v2, vcc, v3, v2, vcc
	v_cmp_gt_i64_e32 vcc, s[6:7], v[1:2]
	s_and_saveexec_b64 s[8:9], vcc
	s_cbranch_execz .LBB39_15
; %bb.2:
	s_load_dwordx4 s[0:3], s[4:5], 0x20
	s_load_dwordx2 s[10:11], s[4:5], 0x30
	v_and_b32_e32 v3, 63, v0
	v_subrev_co_u32_e32 v9, vcc, s37, v3
	v_subb_co_u32_e64 v10, s[12:13], 0, 0, vcc
	s_mov_b32 s29, s37
	s_mov_b64 s[12:13], 0
	s_waitcnt lgkmcnt(0)
	v_mov_b32_e32 v11, s1
	v_mov_b32_e32 v12, s3
	s_movk_i32 s1, 0x89
	s_branch .LBB39_4
.LBB39_3:                               ;   in Loop: Header=BB39_4 Depth=1
	s_or_b64 exec, exec, s[14:15]
	v_add_co_u32_e32 v1, vcc, 16, v1
	v_addc_co_u32_e32 v2, vcc, 0, v2, vcc
	v_cmp_le_i64_e32 vcc, s[6:7], v[1:2]
	s_or_b64 s[12:13], vcc, s[12:13]
	s_andn2_b64 exec, exec, s[12:13]
	s_cbranch_execz .LBB39_15
.LBB39_4:                               ; =>This Loop Header: Depth=1
                                        ;     Child Loop BB39_7 Depth 2
                                        ;       Child Loop BB39_10 Depth 3
	v_lshlrev_b64 v[3:4], 2, v[1:2]
	v_add_co_u32_e32 v3, vcc, s0, v3
	v_addc_co_u32_e32 v4, vcc, v11, v4, vcc
	global_load_dword v3, v[3:4], off
	s_waitcnt vmcnt(0)
	v_subrev_u32_e32 v3, s36, v3
	v_ashrrev_i32_e32 v4, 31, v3
	v_lshlrev_b64 v[3:4], 3, v[3:4]
	v_add_co_u32_e32 v3, vcc, s2, v3
	v_addc_co_u32_e32 v4, vcc, v12, v4, vcc
	global_load_dwordx4 v[13:16], v[3:4], off
	s_waitcnt vmcnt(0)
	v_subrev_co_u32_e32 v3, vcc, s29, v15
	v_subbrev_co_u32_e32 v4, vcc, 0, v16, vcc
	v_add_co_u32_e32 v5, vcc, v13, v9
	v_addc_co_u32_e32 v6, vcc, v14, v10, vcc
	v_cmp_lt_i64_e32 vcc, v[5:6], v[3:4]
	s_and_saveexec_b64 s[14:15], vcc
	s_cbranch_execz .LBB39_3
; %bb.5:                                ;   in Loop: Header=BB39_4 Depth=1
	s_mov_b64 s[16:17], 0
	s_branch .LBB39_7
.LBB39_6:                               ;   in Loop: Header=BB39_7 Depth=2
	s_or_b64 exec, exec, s[18:19]
	v_add_co_u32_e32 v5, vcc, 64, v5
	v_addc_co_u32_e32 v6, vcc, 0, v6, vcc
	v_cmp_ge_i64_e32 vcc, v[5:6], v[3:4]
	s_or_b64 s[16:17], vcc, s[16:17]
	s_andn2_b64 exec, exec, s[16:17]
	s_cbranch_execz .LBB39_3
.LBB39_7:                               ;   Parent Loop BB39_4 Depth=1
                                        ; =>  This Loop Header: Depth=2
                                        ;       Child Loop BB39_10 Depth 3
	v_lshlrev_b64 v[13:14], 2, v[5:6]
	v_mov_b32_e32 v15, s11
	v_add_co_u32_e32 v13, vcc, s10, v13
	v_addc_co_u32_e32 v14, vcc, v15, v14, vcc
	global_load_dword v13, v[13:14], off
	s_mov_b64 s[18:19], 0
                                        ; implicit-def: $sgpr20_sgpr21
	s_waitcnt vmcnt(0)
	v_subrev_u32_e32 v13, s37, v13
	v_mul_lo_u32 v14, v13, s1
	v_and_b32_e32 v14, 0x1fff, v14
	s_branch .LBB39_10
.LBB39_8:                               ;   in Loop: Header=BB39_10 Depth=3
	s_or_b64 exec, exec, s[24:25]
	s_andn2_b64 s[20:21], s[20:21], exec
	s_and_b64 s[24:25], s[26:27], exec
	s_or_b64 s[20:21], s[20:21], s[24:25]
.LBB39_9:                               ;   in Loop: Header=BB39_10 Depth=3
	s_or_b64 exec, exec, s[22:23]
	s_xor_b64 s[22:23], s[20:21], -1
	s_and_b64 s[22:23], exec, s[22:23]
	s_or_b64 s[18:19], s[22:23], s[18:19]
	s_andn2_b64 exec, exec, s[18:19]
	s_cbranch_execz .LBB39_6
.LBB39_10:                              ;   Parent Loop BB39_4 Depth=1
                                        ;     Parent Loop BB39_7 Depth=2
                                        ; =>    This Inner Loop Header: Depth=3
	v_lshl_add_u32 v15, v14, 2, 0
	ds_read_b32 v16, v15
	s_andn2_b64 s[20:21], s[20:21], exec
	s_waitcnt lgkmcnt(0)
	v_cmp_ne_u32_e32 vcc, v16, v13
	s_and_saveexec_b64 s[22:23], vcc
	s_cbranch_execz .LBB39_9
; %bb.11:                               ;   in Loop: Header=BB39_10 Depth=3
	v_cmp_ne_u32_e32 vcc, s33, v16
	s_and_saveexec_b64 s[24:25], vcc
	s_xor_b64 s[24:25], exec, s[24:25]
; %bb.12:                               ;   in Loop: Header=BB39_10 Depth=3
	v_add_u32_e32 v14, 1, v14
	v_and_b32_e32 v14, 0x1fff, v14
                                        ; implicit-def: $vgpr15
; %bb.13:                               ;   in Loop: Header=BB39_10 Depth=3
	s_or_saveexec_b64 s[24:25], s[24:25]
	s_mov_b64 s[26:27], -1
	s_xor_b64 exec, exec, s[24:25]
	s_cbranch_execz .LBB39_8
; %bb.14:                               ;   in Loop: Header=BB39_10 Depth=3
	v_mov_b32_e32 v16, s33
	ds_cmpst_rtn_b32 v15, v15, v16, v13
	s_waitcnt lgkmcnt(0)
	v_cmp_ne_u32_e32 vcc, s33, v15
	s_orn2_b64 s[26:27], vcc, exec
	s_branch .LBB39_8
.LBB39_15:
	s_or_b64 exec, exec, s[8:9]
.LBB39_16:
	s_load_dwordx4 s[40:43], s[4:5], 0x48
	s_bfe_u32 s0, s28, 0x10008
	s_cmp_eq_u32 s0, 0
	s_cbranch_scc1 .LBB39_29
; %bb.17:
	s_load_dwordx2 s[0:1], s[4:5], 0x38
	s_waitcnt lgkmcnt(0)
	s_ashr_i32 s35, s34, 31
	s_lshl_b64 s[2:3], s[34:35], 3
	v_subrev_co_u32_e32 v1, vcc, s39, v0
	s_add_u32 s0, s0, s2
	s_addc_u32 s1, s1, s3
	s_load_dwordx4 s[8:11], s[0:1], 0x0
	v_subb_co_u32_e64 v2, s[0:1], 0, 0, vcc
	s_waitcnt lgkmcnt(0)
	s_sub_u32 s0, s10, s39
	v_mov_b32_e32 v3, s9
	v_add_co_u32_e32 v1, vcc, s8, v1
	s_subb_u32 s1, s11, 0
	v_addc_co_u32_e32 v2, vcc, v3, v2, vcc
	v_cmp_gt_i64_e32 vcc, s[0:1], v[1:2]
	s_and_saveexec_b64 s[2:3], vcc
	s_cbranch_execz .LBB39_28
; %bb.18:
	s_load_dwordx2 s[4:5], s[4:5], 0x40
	s_mov_b64 s[6:7], 0
	s_waitcnt lgkmcnt(0)
	v_mov_b32_e32 v3, s5
	s_movk_i32 s5, 0x89
	s_branch .LBB39_20
.LBB39_19:                              ;   in Loop: Header=BB39_20 Depth=1
	s_or_b64 exec, exec, s[8:9]
	v_add_co_u32_e32 v1, vcc, 0x400, v1
	v_addc_co_u32_e32 v2, vcc, 0, v2, vcc
	v_cmp_le_i64_e32 vcc, s[0:1], v[1:2]
	s_or_b64 s[6:7], vcc, s[6:7]
	s_andn2_b64 exec, exec, s[6:7]
	s_cbranch_execz .LBB39_28
.LBB39_20:                              ; =>This Loop Header: Depth=1
                                        ;     Child Loop BB39_23 Depth 2
	v_lshlrev_b64 v[4:5], 2, v[1:2]
	s_mov_b64 s[8:9], 0
	v_add_co_u32_e32 v4, vcc, s4, v4
	v_addc_co_u32_e32 v5, vcc, v3, v5, vcc
	global_load_dword v4, v[4:5], off
                                        ; implicit-def: $sgpr10_sgpr11
	s_waitcnt vmcnt(0)
	v_subrev_u32_e32 v4, s39, v4
	v_mul_lo_u32 v5, v4, s5
	v_and_b32_e32 v5, 0x1fff, v5
	s_branch .LBB39_23
.LBB39_21:                              ;   in Loop: Header=BB39_23 Depth=2
	s_or_b64 exec, exec, s[14:15]
	s_andn2_b64 s[10:11], s[10:11], exec
	s_and_b64 s[14:15], s[16:17], exec
	s_or_b64 s[10:11], s[10:11], s[14:15]
.LBB39_22:                              ;   in Loop: Header=BB39_23 Depth=2
	s_or_b64 exec, exec, s[12:13]
	s_xor_b64 s[12:13], s[10:11], -1
	s_and_b64 s[12:13], exec, s[12:13]
	s_or_b64 s[8:9], s[12:13], s[8:9]
	s_andn2_b64 exec, exec, s[8:9]
	s_cbranch_execz .LBB39_19
.LBB39_23:                              ;   Parent Loop BB39_20 Depth=1
                                        ; =>  This Inner Loop Header: Depth=2
	v_lshl_add_u32 v6, v5, 2, 0
	ds_read_b32 v9, v6
	s_andn2_b64 s[10:11], s[10:11], exec
	s_waitcnt lgkmcnt(0)
	v_cmp_ne_u32_e32 vcc, v9, v4
	s_and_saveexec_b64 s[12:13], vcc
	s_cbranch_execz .LBB39_22
; %bb.24:                               ;   in Loop: Header=BB39_23 Depth=2
	v_cmp_ne_u32_e32 vcc, s33, v9
	s_and_saveexec_b64 s[14:15], vcc
	s_xor_b64 s[14:15], exec, s[14:15]
; %bb.25:                               ;   in Loop: Header=BB39_23 Depth=2
	v_add_u32_e32 v5, 1, v5
	v_and_b32_e32 v5, 0x1fff, v5
                                        ; implicit-def: $vgpr6
; %bb.26:                               ;   in Loop: Header=BB39_23 Depth=2
	s_or_saveexec_b64 s[14:15], s[14:15]
	s_mov_b64 s[16:17], -1
	s_xor_b64 exec, exec, s[14:15]
	s_cbranch_execz .LBB39_21
; %bb.27:                               ;   in Loop: Header=BB39_23 Depth=2
	v_mov_b32_e32 v9, s33
	ds_cmpst_rtn_b32 v6, v6, v9, v4
	s_waitcnt lgkmcnt(0)
	v_cmp_ne_u32_e32 vcc, s33, v6
	s_orn2_b64 s[16:17], vcc, exec
	s_branch .LBB39_21
.LBB39_28:
	s_or_b64 exec, exec, s[2:3]
.LBB39_29:
	v_mbcnt_lo_u32_b32 v1, -1, 0
	v_mbcnt_hi_u32_b32 v1, -1, v1
	v_sub_u32_e32 v1, 63, v1
	v_lshrrev_b64 v[1:2], v1, -1
	s_movk_i32 s0, 0x3ff
	s_movk_i32 s2, 0x7f
	;; [unrolled: 1-line block ×15, first 2 shown]
	v_mov_b32_e32 v3, 0
	v_lshl_add_u32 v4, v8, 2, 0
	v_cmp_eq_u32_e32 vcc, s0, v0
	v_cmp_lt_u32_e64 s[0:1], 63, v0
	v_cmp_lt_u32_e64 s[2:3], s2, v0
	;; [unrolled: 1-line block ×15, first 2 shown]
	v_or_b32_e32 v5, 0xfffffc00, v0
	s_mov_b64 s[36:37], 0
	s_movk_i32 s35, 0x1bff
	v_mov_b32_e32 v6, 0
	s_waitcnt lgkmcnt(0)
	s_barrier
	s_branch .LBB39_31
.LBB39_30:                              ;   in Loop: Header=BB39_31 Depth=1
	s_or_b64 exec, exec, s[30:31]
	s_waitcnt lgkmcnt(0)
	s_barrier
	ds_read_b32 v8, v3 offset:32828
	v_add_u32_e32 v5, 0x400, v5
	v_cmp_lt_u32_e64 s[30:31], s35, v5
	s_or_b64 s[36:37], s[30:31], s[36:37]
	v_add_u32_e32 v7, 0x1000, v7
	s_waitcnt lgkmcnt(0)
	v_add_u32_e32 v6, v8, v6
	s_andn2_b64 exec, exec, s[36:37]
	s_cbranch_execz .LBB39_65
.LBB39_31:                              ; =>This Inner Loop Header: Depth=1
	ds_read_b32 v8, v7
	s_waitcnt lgkmcnt(0)
	s_barrier
	v_cmp_gt_i32_e64 s[30:31], s33, v8
	v_and_b32_e32 v10, s30, v1
	s_bcnt1_i32_b64 s39, s[30:31]
	v_and_b32_e32 v9, s31, v2
	v_bcnt_u32_b32 v10, v10, 0
	v_bcnt_u32_b32 v9, v9, v10
	v_mov_b32_e32 v10, s39
	ds_write_b32 v4, v10 offset:32768
	s_waitcnt lgkmcnt(0)
	s_barrier
	s_and_saveexec_b64 s[44:45], s[0:1]
	s_cbranch_execnz .LBB39_48
; %bb.32:                               ;   in Loop: Header=BB39_31 Depth=1
	s_or_b64 exec, exec, s[44:45]
	s_and_saveexec_b64 s[44:45], s[2:3]
	s_cbranch_execnz .LBB39_49
.LBB39_33:                              ;   in Loop: Header=BB39_31 Depth=1
	s_or_b64 exec, exec, s[44:45]
	s_and_saveexec_b64 s[44:45], s[4:5]
	s_cbranch_execnz .LBB39_50
.LBB39_34:                              ;   in Loop: Header=BB39_31 Depth=1
	s_or_b64 exec, exec, s[44:45]
	s_and_saveexec_b64 s[44:45], s[6:7]
	s_cbranch_execnz .LBB39_51
.LBB39_35:                              ;   in Loop: Header=BB39_31 Depth=1
	s_or_b64 exec, exec, s[44:45]
	s_and_saveexec_b64 s[44:45], s[8:9]
	s_cbranch_execnz .LBB39_52
.LBB39_36:                              ;   in Loop: Header=BB39_31 Depth=1
	s_or_b64 exec, exec, s[44:45]
	s_and_saveexec_b64 s[44:45], s[10:11]
	s_cbranch_execnz .LBB39_53
.LBB39_37:                              ;   in Loop: Header=BB39_31 Depth=1
	s_or_b64 exec, exec, s[44:45]
	s_and_saveexec_b64 s[44:45], s[12:13]
	s_cbranch_execnz .LBB39_54
.LBB39_38:                              ;   in Loop: Header=BB39_31 Depth=1
	s_or_b64 exec, exec, s[44:45]
	s_and_saveexec_b64 s[44:45], s[14:15]
	s_cbranch_execnz .LBB39_55
.LBB39_39:                              ;   in Loop: Header=BB39_31 Depth=1
	s_or_b64 exec, exec, s[44:45]
	s_and_saveexec_b64 s[44:45], s[16:17]
	s_cbranch_execnz .LBB39_56
.LBB39_40:                              ;   in Loop: Header=BB39_31 Depth=1
	s_or_b64 exec, exec, s[44:45]
	s_and_saveexec_b64 s[44:45], s[18:19]
	s_cbranch_execnz .LBB39_57
.LBB39_41:                              ;   in Loop: Header=BB39_31 Depth=1
	s_or_b64 exec, exec, s[44:45]
	s_and_saveexec_b64 s[44:45], s[20:21]
	s_cbranch_execnz .LBB39_58
.LBB39_42:                              ;   in Loop: Header=BB39_31 Depth=1
	s_or_b64 exec, exec, s[44:45]
	s_and_saveexec_b64 s[44:45], s[22:23]
	s_cbranch_execnz .LBB39_59
.LBB39_43:                              ;   in Loop: Header=BB39_31 Depth=1
	s_or_b64 exec, exec, s[44:45]
	s_and_saveexec_b64 s[44:45], s[24:25]
	s_cbranch_execnz .LBB39_60
.LBB39_44:                              ;   in Loop: Header=BB39_31 Depth=1
	s_or_b64 exec, exec, s[44:45]
	s_and_saveexec_b64 s[44:45], s[26:27]
	s_cbranch_execnz .LBB39_61
.LBB39_45:                              ;   in Loop: Header=BB39_31 Depth=1
	s_or_b64 exec, exec, s[44:45]
	s_and_saveexec_b64 s[44:45], s[28:29]
	s_cbranch_execnz .LBB39_62
.LBB39_46:                              ;   in Loop: Header=BB39_31 Depth=1
	s_or_b64 exec, exec, s[44:45]
	s_and_saveexec_b64 s[44:45], s[30:31]
	s_cbranch_execnz .LBB39_63
.LBB39_47:                              ;   in Loop: Header=BB39_31 Depth=1
	s_or_b64 exec, exec, s[44:45]
	s_and_saveexec_b64 s[30:31], vcc
	s_cbranch_execz .LBB39_30
	s_branch .LBB39_64
.LBB39_48:                              ;   in Loop: Header=BB39_31 Depth=1
	ds_read_b32 v10, v3 offset:32768
	s_waitcnt lgkmcnt(0)
	v_add_u32_e32 v9, v10, v9
	s_or_b64 exec, exec, s[44:45]
	s_and_saveexec_b64 s[44:45], s[2:3]
	s_cbranch_execz .LBB39_33
.LBB39_49:                              ;   in Loop: Header=BB39_31 Depth=1
	ds_read_b32 v10, v3 offset:32772
	s_waitcnt lgkmcnt(0)
	v_add_u32_e32 v9, v10, v9
	s_or_b64 exec, exec, s[44:45]
	s_and_saveexec_b64 s[44:45], s[4:5]
	s_cbranch_execz .LBB39_34
.LBB39_50:                              ;   in Loop: Header=BB39_31 Depth=1
	ds_read_b32 v10, v3 offset:32776
	s_waitcnt lgkmcnt(0)
	v_add_u32_e32 v9, v10, v9
	s_or_b64 exec, exec, s[44:45]
	s_and_saveexec_b64 s[44:45], s[6:7]
	s_cbranch_execz .LBB39_35
.LBB39_51:                              ;   in Loop: Header=BB39_31 Depth=1
	ds_read_b32 v10, v3 offset:32780
	s_waitcnt lgkmcnt(0)
	v_add_u32_e32 v9, v10, v9
	s_or_b64 exec, exec, s[44:45]
	s_and_saveexec_b64 s[44:45], s[8:9]
	s_cbranch_execz .LBB39_36
.LBB39_52:                              ;   in Loop: Header=BB39_31 Depth=1
	ds_read_b32 v10, v3 offset:32784
	s_waitcnt lgkmcnt(0)
	v_add_u32_e32 v9, v10, v9
	s_or_b64 exec, exec, s[44:45]
	s_and_saveexec_b64 s[44:45], s[10:11]
	s_cbranch_execz .LBB39_37
.LBB39_53:                              ;   in Loop: Header=BB39_31 Depth=1
	ds_read_b32 v10, v3 offset:32788
	s_waitcnt lgkmcnt(0)
	v_add_u32_e32 v9, v10, v9
	s_or_b64 exec, exec, s[44:45]
	s_and_saveexec_b64 s[44:45], s[12:13]
	s_cbranch_execz .LBB39_38
.LBB39_54:                              ;   in Loop: Header=BB39_31 Depth=1
	ds_read_b32 v10, v3 offset:32792
	s_waitcnt lgkmcnt(0)
	v_add_u32_e32 v9, v10, v9
	s_or_b64 exec, exec, s[44:45]
	s_and_saveexec_b64 s[44:45], s[14:15]
	s_cbranch_execz .LBB39_39
.LBB39_55:                              ;   in Loop: Header=BB39_31 Depth=1
	ds_read_b32 v10, v3 offset:32796
	s_waitcnt lgkmcnt(0)
	v_add_u32_e32 v9, v10, v9
	s_or_b64 exec, exec, s[44:45]
	s_and_saveexec_b64 s[44:45], s[16:17]
	s_cbranch_execz .LBB39_40
.LBB39_56:                              ;   in Loop: Header=BB39_31 Depth=1
	ds_read_b32 v10, v3 offset:32800
	s_waitcnt lgkmcnt(0)
	v_add_u32_e32 v9, v10, v9
	s_or_b64 exec, exec, s[44:45]
	s_and_saveexec_b64 s[44:45], s[18:19]
	s_cbranch_execz .LBB39_41
.LBB39_57:                              ;   in Loop: Header=BB39_31 Depth=1
	ds_read_b32 v10, v3 offset:32804
	s_waitcnt lgkmcnt(0)
	v_add_u32_e32 v9, v10, v9
	s_or_b64 exec, exec, s[44:45]
	s_and_saveexec_b64 s[44:45], s[20:21]
	s_cbranch_execz .LBB39_42
.LBB39_58:                              ;   in Loop: Header=BB39_31 Depth=1
	ds_read_b32 v10, v3 offset:32808
	s_waitcnt lgkmcnt(0)
	v_add_u32_e32 v9, v10, v9
	s_or_b64 exec, exec, s[44:45]
	s_and_saveexec_b64 s[44:45], s[22:23]
	s_cbranch_execz .LBB39_43
.LBB39_59:                              ;   in Loop: Header=BB39_31 Depth=1
	ds_read_b32 v10, v3 offset:32812
	s_waitcnt lgkmcnt(0)
	v_add_u32_e32 v9, v10, v9
	s_or_b64 exec, exec, s[44:45]
	s_and_saveexec_b64 s[44:45], s[24:25]
	s_cbranch_execz .LBB39_44
.LBB39_60:                              ;   in Loop: Header=BB39_31 Depth=1
	ds_read_b32 v10, v3 offset:32816
	s_waitcnt lgkmcnt(0)
	v_add_u32_e32 v9, v10, v9
	s_or_b64 exec, exec, s[44:45]
	s_and_saveexec_b64 s[44:45], s[26:27]
	s_cbranch_execz .LBB39_45
.LBB39_61:                              ;   in Loop: Header=BB39_31 Depth=1
	ds_read_b32 v10, v3 offset:32820
	s_waitcnt lgkmcnt(0)
	v_add_u32_e32 v9, v10, v9
	s_or_b64 exec, exec, s[44:45]
	s_and_saveexec_b64 s[44:45], s[28:29]
	s_cbranch_execz .LBB39_46
.LBB39_62:                              ;   in Loop: Header=BB39_31 Depth=1
	ds_read_b32 v10, v3 offset:32824
	s_waitcnt lgkmcnt(0)
	v_add_u32_e32 v9, v10, v9
	s_or_b64 exec, exec, s[44:45]
	s_and_saveexec_b64 s[44:45], s[30:31]
	s_cbranch_execz .LBB39_47
.LBB39_63:                              ;   in Loop: Header=BB39_31 Depth=1
	v_lshlrev_b32_e32 v10, 2, v6
	v_add_u32_e32 v10, 0, v10
	v_lshlrev_b32_e32 v11, 2, v9
	v_add3_u32 v10, v10, v11, -4
	ds_write_b32 v10, v8
	s_or_b64 exec, exec, s[44:45]
	s_and_saveexec_b64 s[30:31], vcc
	s_cbranch_execz .LBB39_30
.LBB39_64:                              ;   in Loop: Header=BB39_31 Depth=1
	ds_write_b32 v3, v9 offset:32828
	s_branch .LBB39_30
.LBB39_65:
	s_or_b64 exec, exec, s[36:37]
	s_ashr_i32 s35, s34, 31
	s_lshl_b64 s[0:1], s[34:35], 3
	s_add_u32 s4, s40, s0
	s_addc_u32 s5, s41, s1
	s_load_dwordx4 s[0:3], s[4:5], 0x0
	s_waitcnt lgkmcnt(0)
	s_sub_i32 s8, s2, s0
	v_cmp_gt_i32_e32 vcc, s8, v0
	s_and_saveexec_b64 s[4:5], vcc
	s_cbranch_execz .LBB39_75
; %bb.66:
	s_sub_u32 s4, s0, s38
	s_subb_u32 s5, s1, 0
	s_and_b32 s9, s8, 7
	s_sub_i32 s0, s0, s2
	s_cmp_lt_u32 s0, -7
	s_cselect_b64 s[0:1], -1, 0
	s_and_b32 s10, s8, -8
	s_cmp_lg_u32 s9, 0
	v_cndmask_b32_e64 v1, 0, 1, s[0:1]
	s_mov_b64 s[2:3], 0
	s_cselect_b64 s[6:7], -1, 0
	v_cmp_ne_u32_e64 s[0:1], 1, v1
	s_branch .LBB39_68
.LBB39_67:                              ;   in Loop: Header=BB39_68 Depth=1
	v_lshlrev_b64 v[1:2], 2, v[1:2]
	v_mov_b32_e32 v4, s43
	v_add_co_u32_e32 v1, vcc, s42, v1
	v_addc_co_u32_e32 v2, vcc, v4, v2, vcc
	v_add_u32_e32 v0, 0x400, v0
	v_cmp_le_i32_e32 vcc, s8, v0
	s_waitcnt lgkmcnt(0)
	v_add_u32_e32 v3, s38, v3
	s_or_b64 s[2:3], vcc, s[2:3]
	global_store_dword v[1:2], v3, off
	s_andn2_b64 exec, exec, s[2:3]
	s_cbranch_execz .LBB39_75
.LBB39_68:                              ; =>This Loop Header: Depth=1
                                        ;     Child Loop BB39_70 Depth 2
                                        ;     Child Loop BB39_74 Depth 2
	v_lshl_add_u32 v1, v0, 2, 0
	ds_read_b32 v3, v1
	v_mov_b32_e32 v1, s4
	s_and_b64 vcc, exec, s[0:1]
	v_mov_b32_e32 v2, s5
	s_mov_b32 s11, 0
	s_cbranch_vccnz .LBB39_72
; %bb.69:                               ;   in Loop: Header=BB39_68 Depth=1
	v_mov_b32_e32 v1, s4
	s_mov_b32 s12, 0
	v_mov_b32_e32 v2, s5
.LBB39_70:                              ;   Parent Loop BB39_68 Depth=1
                                        ; =>  This Inner Loop Header: Depth=2
	v_mov_b32_e32 v10, s12
	ds_read2_b32 v[4:5], v10 offset1:1
	ds_read2_b32 v[6:7], v10 offset0:2 offset1:3
	ds_read2_b32 v[8:9], v10 offset0:4 offset1:5
	;; [unrolled: 1-line block ×3, first 2 shown]
	s_add_i32 s11, s11, 8
	s_waitcnt lgkmcnt(3)
	v_cmp_gt_i32_e32 vcc, v3, v4
	v_cndmask_b32_e64 v4, 0, 1, vcc
	v_cmp_gt_i32_e32 vcc, v3, v5
	v_cndmask_b32_e64 v5, 0, 1, vcc
	s_waitcnt lgkmcnt(2)
	v_cmp_gt_i32_e32 vcc, v3, v6
	v_cndmask_b32_e64 v6, 0, 1, vcc
	v_cmp_gt_i32_e32 vcc, v3, v7
	v_cndmask_b32_e64 v7, 0, 1, vcc
	;; [unrolled: 5-line block ×4, first 2 shown]
	v_add_co_u32_e32 v1, vcc, v1, v4
	v_addc_co_u32_e32 v2, vcc, 0, v2, vcc
	v_add_co_u32_e32 v1, vcc, v1, v5
	v_addc_co_u32_e32 v2, vcc, 0, v2, vcc
	;; [unrolled: 2-line block ×7, first 2 shown]
	s_add_i32 s12, s12, 32
	v_add_co_u32_e32 v1, vcc, v1, v11
	s_cmp_eq_u32 s10, s11
	v_addc_co_u32_e32 v2, vcc, 0, v2, vcc
	s_cbranch_scc0 .LBB39_70
; %bb.71:                               ;   in Loop: Header=BB39_68 Depth=1
	s_mov_b32 s11, s10
.LBB39_72:                              ;   in Loop: Header=BB39_68 Depth=1
	s_andn2_b64 vcc, exec, s[6:7]
	s_cbranch_vccnz .LBB39_67
; %bb.73:                               ;   in Loop: Header=BB39_68 Depth=1
	s_lshl_b32 s11, s11, 2
	s_add_i32 s11, s11, 0
	s_mov_b32 s12, s9
.LBB39_74:                              ;   Parent Loop BB39_68 Depth=1
                                        ; =>  This Inner Loop Header: Depth=2
	v_mov_b32_e32 v4, s11
	ds_read_b32 v4, v4
	s_add_i32 s11, s11, 4
	s_add_i32 s12, s12, -1
	s_cmp_lg_u32 s12, 0
	s_waitcnt lgkmcnt(0)
	v_cmp_gt_i32_e32 vcc, v3, v4
	v_cndmask_b32_e64 v4, 0, 1, vcc
	v_add_co_u32_e32 v1, vcc, v1, v4
	v_addc_co_u32_e32 v2, vcc, 0, v2, vcc
	s_cbranch_scc1 .LBB39_74
	s_branch .LBB39_67
.LBB39_75:
	s_endpgm
	.section	.rodata,"a",@progbits
	.p2align	6, 0x0
	.amdhsa_kernel _ZN9rocsparseL35csrgemm_symbolic_fill_block_per_rowILj1024ELj64ELj8192ELj137ELj64EliEEvT5_PKS1_S3_PKT4_S3_S6_S3_S6_S3_S6_PS1_21rocsparse_index_base_S8_S8_S8_bb
		.amdhsa_group_segment_fixed_size 0
		.amdhsa_private_segment_fixed_size 0
		.amdhsa_kernarg_size 108
		.amdhsa_user_sgpr_count 6
		.amdhsa_user_sgpr_private_segment_buffer 1
		.amdhsa_user_sgpr_dispatch_ptr 0
		.amdhsa_user_sgpr_queue_ptr 0
		.amdhsa_user_sgpr_kernarg_segment_ptr 1
		.amdhsa_user_sgpr_dispatch_id 0
		.amdhsa_user_sgpr_flat_scratch_init 0
		.amdhsa_user_sgpr_private_segment_size 0
		.amdhsa_uses_dynamic_stack 0
		.amdhsa_system_sgpr_private_segment_wavefront_offset 0
		.amdhsa_system_sgpr_workgroup_id_x 1
		.amdhsa_system_sgpr_workgroup_id_y 0
		.amdhsa_system_sgpr_workgroup_id_z 0
		.amdhsa_system_sgpr_workgroup_info 0
		.amdhsa_system_vgpr_workitem_id 0
		.amdhsa_next_free_vgpr 17
		.amdhsa_next_free_sgpr 46
		.amdhsa_reserve_vcc 1
		.amdhsa_reserve_flat_scratch 0
		.amdhsa_float_round_mode_32 0
		.amdhsa_float_round_mode_16_64 0
		.amdhsa_float_denorm_mode_32 3
		.amdhsa_float_denorm_mode_16_64 3
		.amdhsa_dx10_clamp 1
		.amdhsa_ieee_mode 1
		.amdhsa_fp16_overflow 0
		.amdhsa_exception_fp_ieee_invalid_op 0
		.amdhsa_exception_fp_denorm_src 0
		.amdhsa_exception_fp_ieee_div_zero 0
		.amdhsa_exception_fp_ieee_overflow 0
		.amdhsa_exception_fp_ieee_underflow 0
		.amdhsa_exception_fp_ieee_inexact 0
		.amdhsa_exception_int_div_zero 0
	.end_amdhsa_kernel
	.section	.text._ZN9rocsparseL35csrgemm_symbolic_fill_block_per_rowILj1024ELj64ELj8192ELj137ELj64EliEEvT5_PKS1_S3_PKT4_S3_S6_S3_S6_S3_S6_PS1_21rocsparse_index_base_S8_S8_S8_bb,"axG",@progbits,_ZN9rocsparseL35csrgemm_symbolic_fill_block_per_rowILj1024ELj64ELj8192ELj137ELj64EliEEvT5_PKS1_S3_PKT4_S3_S6_S3_S6_S3_S6_PS1_21rocsparse_index_base_S8_S8_S8_bb,comdat
.Lfunc_end39:
	.size	_ZN9rocsparseL35csrgemm_symbolic_fill_block_per_rowILj1024ELj64ELj8192ELj137ELj64EliEEvT5_PKS1_S3_PKT4_S3_S6_S3_S6_S3_S6_PS1_21rocsparse_index_base_S8_S8_S8_bb, .Lfunc_end39-_ZN9rocsparseL35csrgemm_symbolic_fill_block_per_rowILj1024ELj64ELj8192ELj137ELj64EliEEvT5_PKS1_S3_PKT4_S3_S6_S3_S6_S3_S6_PS1_21rocsparse_index_base_S8_S8_S8_bb
                                        ; -- End function
	.set _ZN9rocsparseL35csrgemm_symbolic_fill_block_per_rowILj1024ELj64ELj8192ELj137ELj64EliEEvT5_PKS1_S3_PKT4_S3_S6_S3_S6_S3_S6_PS1_21rocsparse_index_base_S8_S8_S8_bb.num_vgpr, 17
	.set _ZN9rocsparseL35csrgemm_symbolic_fill_block_per_rowILj1024ELj64ELj8192ELj137ELj64EliEEvT5_PKS1_S3_PKT4_S3_S6_S3_S6_S3_S6_PS1_21rocsparse_index_base_S8_S8_S8_bb.num_agpr, 0
	.set _ZN9rocsparseL35csrgemm_symbolic_fill_block_per_rowILj1024ELj64ELj8192ELj137ELj64EliEEvT5_PKS1_S3_PKT4_S3_S6_S3_S6_S3_S6_PS1_21rocsparse_index_base_S8_S8_S8_bb.numbered_sgpr, 46
	.set _ZN9rocsparseL35csrgemm_symbolic_fill_block_per_rowILj1024ELj64ELj8192ELj137ELj64EliEEvT5_PKS1_S3_PKT4_S3_S6_S3_S6_S3_S6_PS1_21rocsparse_index_base_S8_S8_S8_bb.num_named_barrier, 0
	.set _ZN9rocsparseL35csrgemm_symbolic_fill_block_per_rowILj1024ELj64ELj8192ELj137ELj64EliEEvT5_PKS1_S3_PKT4_S3_S6_S3_S6_S3_S6_PS1_21rocsparse_index_base_S8_S8_S8_bb.private_seg_size, 0
	.set _ZN9rocsparseL35csrgemm_symbolic_fill_block_per_rowILj1024ELj64ELj8192ELj137ELj64EliEEvT5_PKS1_S3_PKT4_S3_S6_S3_S6_S3_S6_PS1_21rocsparse_index_base_S8_S8_S8_bb.uses_vcc, 1
	.set _ZN9rocsparseL35csrgemm_symbolic_fill_block_per_rowILj1024ELj64ELj8192ELj137ELj64EliEEvT5_PKS1_S3_PKT4_S3_S6_S3_S6_S3_S6_PS1_21rocsparse_index_base_S8_S8_S8_bb.uses_flat_scratch, 0
	.set _ZN9rocsparseL35csrgemm_symbolic_fill_block_per_rowILj1024ELj64ELj8192ELj137ELj64EliEEvT5_PKS1_S3_PKT4_S3_S6_S3_S6_S3_S6_PS1_21rocsparse_index_base_S8_S8_S8_bb.has_dyn_sized_stack, 0
	.set _ZN9rocsparseL35csrgemm_symbolic_fill_block_per_rowILj1024ELj64ELj8192ELj137ELj64EliEEvT5_PKS1_S3_PKT4_S3_S6_S3_S6_S3_S6_PS1_21rocsparse_index_base_S8_S8_S8_bb.has_recursion, 0
	.set _ZN9rocsparseL35csrgemm_symbolic_fill_block_per_rowILj1024ELj64ELj8192ELj137ELj64EliEEvT5_PKS1_S3_PKT4_S3_S6_S3_S6_S3_S6_PS1_21rocsparse_index_base_S8_S8_S8_bb.has_indirect_call, 0
	.section	.AMDGPU.csdata,"",@progbits
; Kernel info:
; codeLenInByte = 2620
; TotalNumSgprs: 50
; NumVgprs: 17
; ScratchSize: 0
; MemoryBound: 0
; FloatMode: 240
; IeeeMode: 1
; LDSByteSize: 0 bytes/workgroup (compile time only)
; SGPRBlocks: 6
; VGPRBlocks: 4
; NumSGPRsForWavesPerEU: 50
; NumVGPRsForWavesPerEU: 17
; Occupancy: 10
; WaveLimiterHint : 1
; COMPUTE_PGM_RSRC2:SCRATCH_EN: 0
; COMPUTE_PGM_RSRC2:USER_SGPR: 6
; COMPUTE_PGM_RSRC2:TRAP_HANDLER: 0
; COMPUTE_PGM_RSRC2:TGID_X_EN: 1
; COMPUTE_PGM_RSRC2:TGID_Y_EN: 0
; COMPUTE_PGM_RSRC2:TGID_Z_EN: 0
; COMPUTE_PGM_RSRC2:TIDIG_COMP_CNT: 0
	.section	.text._ZN9rocsparseL35csrgemm_symbolic_fill_block_per_rowILj1024ELj64ELj16384ELj137ELj32EliEEvT5_PKS1_S3_PKT4_S3_S6_S3_S6_S3_S6_PS1_21rocsparse_index_base_S8_S8_S8_bb,"axG",@progbits,_ZN9rocsparseL35csrgemm_symbolic_fill_block_per_rowILj1024ELj64ELj16384ELj137ELj32EliEEvT5_PKS1_S3_PKT4_S3_S6_S3_S6_S3_S6_PS1_21rocsparse_index_base_S8_S8_S8_bb,comdat
	.globl	_ZN9rocsparseL35csrgemm_symbolic_fill_block_per_rowILj1024ELj64ELj16384ELj137ELj32EliEEvT5_PKS1_S3_PKT4_S3_S6_S3_S6_S3_S6_PS1_21rocsparse_index_base_S8_S8_S8_bb ; -- Begin function _ZN9rocsparseL35csrgemm_symbolic_fill_block_per_rowILj1024ELj64ELj16384ELj137ELj32EliEEvT5_PKS1_S3_PKT4_S3_S6_S3_S6_S3_S6_PS1_21rocsparse_index_base_S8_S8_S8_bb
	.p2align	8
	.type	_ZN9rocsparseL35csrgemm_symbolic_fill_block_per_rowILj1024ELj64ELj16384ELj137ELj32EliEEvT5_PKS1_S3_PKT4_S3_S6_S3_S6_S3_S6_PS1_21rocsparse_index_base_S8_S8_S8_bb,@function
_ZN9rocsparseL35csrgemm_symbolic_fill_block_per_rowILj1024ELj64ELj16384ELj137ELj32EliEEvT5_PKS1_S3_PKT4_S3_S6_S3_S6_S3_S6_PS1_21rocsparse_index_base_S8_S8_S8_bb: ; @_ZN9rocsparseL35csrgemm_symbolic_fill_block_per_rowILj1024ELj64ELj16384ELj137ELj32EliEEvT5_PKS1_S3_PKT4_S3_S6_S3_S6_S3_S6_PS1_21rocsparse_index_base_S8_S8_S8_bb
; %bb.0:
	s_load_dwordx4 s[36:39], s[4:5], 0x48
	s_load_dwordx8 s[8:15], s[4:5], 0x28
	s_load_dword s33, s[4:5], 0x0
	s_load_dwordx8 s[16:23], s[4:5], 0x8
	v_or_b32_e32 v7, 0xfffffc00, v0
	v_lshl_add_u32 v8, v0, 2, 0
	s_mov_b64 s[0:1], 0
	s_waitcnt lgkmcnt(0)
	v_mov_b32_e32 v1, s33
	s_movk_i32 s2, 0x3bff
	v_mov_b32_e32 v2, v8
	v_mov_b32_e32 v3, v7
.LBB40_1:                               ; =>This Inner Loop Header: Depth=1
	v_add_u32_e32 v3, 0x400, v3
	v_cmp_lt_u32_e32 vcc, s2, v3
	ds_write_b32 v2, v1
	s_or_b64 s[0:1], vcc, s[0:1]
	v_add_u32_e32 v2, 0x1000, v2
	s_andn2_b64 exec, exec, s[0:1]
	s_cbranch_execnz .LBB40_1
; %bb.2:
	s_or_b64 exec, exec, s[0:1]
	s_load_dword s30, s[4:5], 0x68
	s_waitcnt lgkmcnt(0)
	s_barrier
	s_load_dword s2, s[16:17], 0x0
	s_load_dwordx4 s[64:67], s[4:5], 0x58
	s_bitcmp1_b32 s30, 0
	s_cselect_b64 s[0:1], -1, 0
	s_mov_b32 s3, 0
	s_waitcnt lgkmcnt(0)
	s_add_i32 s2, s2, s6
	s_lshl_b64 s[2:3], s[2:3], 2
	s_add_u32 s2, s18, s2
	s_addc_u32 s3, s19, s3
	s_load_dword s2, s[2:3], 0x0
                                        ; implicit-def: $vgpr17 : SGPR spill to VGPR lane
	s_and_b64 vcc, exec, s[0:1]
	s_waitcnt lgkmcnt(0)
	v_writelane_b32 v17, s2, 0
	v_writelane_b32 v17, s3, 1
	s_cbranch_vccz .LBB40_18
; %bb.3:
	v_readlane_b32 s0, v17, 0
	v_readlane_b32 s1, v17, 1
	s_mov_b32 s2, s0
	s_ashr_i32 s3, s0, 31
	v_writelane_b32 v17, s0, 0
	v_writelane_b32 v17, s1, 1
	s_lshl_b64 s[0:1], s[2:3], 3
	s_add_u32 s0, s20, s0
	s_addc_u32 s1, s21, s1
	s_load_dwordx4 s[4:7], s[0:1], 0x0
	v_lshrrev_b32_e32 v1, 6, v0
	v_subrev_co_u32_e32 v1, vcc, s64, v1
	v_subb_co_u32_e64 v2, s[2:3], 0, 0, vcc
	s_waitcnt lgkmcnt(0)
	s_sub_u32 s0, s6, s64
	v_mov_b32_e32 v3, s5
	v_add_co_u32_e32 v1, vcc, s4, v1
	s_subb_u32 s1, s7, 0
	v_addc_co_u32_e32 v2, vcc, v3, v2, vcc
	v_cmp_gt_i64_e32 vcc, s[0:1], v[1:2]
	s_and_saveexec_b64 s[2:3], vcc
	s_cbranch_execz .LBB40_17
; %bb.4:
	v_and_b32_e32 v3, 63, v0
	v_subrev_co_u32_e32 v9, vcc, s65, v3
	v_subb_co_u32_e64 v10, s[4:5], 0, 0, vcc
	s_mov_b32 s31, s65
	s_mov_b64 s[4:5], 0
	v_mov_b32_e32 v11, s23
	v_mov_b32_e32 v12, s9
	s_movk_i32 s9, 0x89
	s_branch .LBB40_6
.LBB40_5:                               ;   in Loop: Header=BB40_6 Depth=1
	s_or_b64 exec, exec, s[6:7]
	v_add_co_u32_e32 v1, vcc, 16, v1
	v_addc_co_u32_e32 v2, vcc, 0, v2, vcc
	v_cmp_le_i64_e32 vcc, s[0:1], v[1:2]
	s_or_b64 s[4:5], vcc, s[4:5]
	s_andn2_b64 exec, exec, s[4:5]
	s_cbranch_execz .LBB40_17
.LBB40_6:                               ; =>This Loop Header: Depth=1
                                        ;     Child Loop BB40_9 Depth 2
                                        ;       Child Loop BB40_12 Depth 3
	v_lshlrev_b64 v[3:4], 2, v[1:2]
	v_add_co_u32_e32 v3, vcc, s22, v3
	v_addc_co_u32_e32 v4, vcc, v11, v4, vcc
	global_load_dword v3, v[3:4], off
	s_waitcnt vmcnt(0)
	v_subrev_u32_e32 v3, s64, v3
	v_ashrrev_i32_e32 v4, 31, v3
	v_lshlrev_b64 v[3:4], 3, v[3:4]
	v_add_co_u32_e32 v3, vcc, s8, v3
	v_addc_co_u32_e32 v4, vcc, v12, v4, vcc
	global_load_dwordx4 v[13:16], v[3:4], off
	s_waitcnt vmcnt(0)
	v_subrev_co_u32_e32 v3, vcc, s31, v15
	v_subbrev_co_u32_e32 v4, vcc, 0, v16, vcc
	v_add_co_u32_e32 v5, vcc, v13, v9
	v_addc_co_u32_e32 v6, vcc, v14, v10, vcc
	v_cmp_lt_i64_e32 vcc, v[5:6], v[3:4]
	s_and_saveexec_b64 s[6:7], vcc
	s_cbranch_execz .LBB40_5
; %bb.7:                                ;   in Loop: Header=BB40_6 Depth=1
	s_mov_b64 s[16:17], 0
	s_branch .LBB40_9
.LBB40_8:                               ;   in Loop: Header=BB40_9 Depth=2
	s_or_b64 exec, exec, s[18:19]
	v_add_co_u32_e32 v5, vcc, 64, v5
	v_addc_co_u32_e32 v6, vcc, 0, v6, vcc
	v_cmp_ge_i64_e32 vcc, v[5:6], v[3:4]
	s_or_b64 s[16:17], vcc, s[16:17]
	s_andn2_b64 exec, exec, s[16:17]
	s_cbranch_execz .LBB40_5
.LBB40_9:                               ;   Parent Loop BB40_6 Depth=1
                                        ; =>  This Loop Header: Depth=2
                                        ;       Child Loop BB40_12 Depth 3
	v_lshlrev_b64 v[13:14], 2, v[5:6]
	v_mov_b32_e32 v15, s11
	v_add_co_u32_e32 v13, vcc, s10, v13
	v_addc_co_u32_e32 v14, vcc, v15, v14, vcc
	global_load_dword v13, v[13:14], off
	s_mov_b64 s[18:19], 0
                                        ; implicit-def: $sgpr20_sgpr21
	s_waitcnt vmcnt(0)
	v_subrev_u32_e32 v13, s65, v13
	v_mul_lo_u32 v14, v13, s9
	v_and_b32_e32 v14, 0x3fff, v14
	s_branch .LBB40_12
.LBB40_10:                              ;   in Loop: Header=BB40_12 Depth=3
	s_or_b64 exec, exec, s[26:27]
	s_andn2_b64 s[20:21], s[20:21], exec
	s_and_b64 s[26:27], s[28:29], exec
	s_or_b64 s[20:21], s[20:21], s[26:27]
.LBB40_11:                              ;   in Loop: Header=BB40_12 Depth=3
	s_or_b64 exec, exec, s[24:25]
	s_xor_b64 s[24:25], s[20:21], -1
	s_and_b64 s[24:25], exec, s[24:25]
	s_or_b64 s[18:19], s[24:25], s[18:19]
	s_andn2_b64 exec, exec, s[18:19]
	s_cbranch_execz .LBB40_8
.LBB40_12:                              ;   Parent Loop BB40_6 Depth=1
                                        ;     Parent Loop BB40_9 Depth=2
                                        ; =>    This Inner Loop Header: Depth=3
	v_lshl_add_u32 v15, v14, 2, 0
	ds_read_b32 v16, v15
	s_andn2_b64 s[20:21], s[20:21], exec
	s_waitcnt lgkmcnt(0)
	v_cmp_ne_u32_e32 vcc, v16, v13
	s_and_saveexec_b64 s[24:25], vcc
	s_cbranch_execz .LBB40_11
; %bb.13:                               ;   in Loop: Header=BB40_12 Depth=3
	v_cmp_ne_u32_e32 vcc, s33, v16
	s_and_saveexec_b64 s[26:27], vcc
	s_xor_b64 s[26:27], exec, s[26:27]
; %bb.14:                               ;   in Loop: Header=BB40_12 Depth=3
	v_add_u32_e32 v14, 1, v14
	v_and_b32_e32 v14, 0x3fff, v14
                                        ; implicit-def: $vgpr15
; %bb.15:                               ;   in Loop: Header=BB40_12 Depth=3
	s_or_saveexec_b64 s[26:27], s[26:27]
	s_mov_b64 s[28:29], -1
	s_xor_b64 exec, exec, s[26:27]
	s_cbranch_execz .LBB40_10
; %bb.16:                               ;   in Loop: Header=BB40_12 Depth=3
	v_mov_b32_e32 v16, s33
	ds_cmpst_rtn_b32 v15, v15, v16, v13
	s_waitcnt lgkmcnt(0)
	v_cmp_ne_u32_e32 vcc, s33, v15
	s_orn2_b64 s[28:29], vcc, exec
	s_branch .LBB40_10
.LBB40_17:
	s_or_b64 exec, exec, s[2:3]
.LBB40_18:
	s_bfe_u32 s0, s30, 0x10008
	s_cmp_eq_u32 s0, 0
	s_cbranch_scc1 .LBB40_31
; %bb.19:
	v_readlane_b32 s0, v17, 0
	v_readlane_b32 s1, v17, 1
	s_mov_b32 s2, s0
	s_ashr_i32 s3, s0, 31
	v_writelane_b32 v17, s0, 0
	v_writelane_b32 v17, s1, 1
	s_lshl_b64 s[0:1], s[2:3], 3
	s_add_u32 s0, s12, s0
	s_addc_u32 s1, s13, s1
	s_load_dwordx4 s[4:7], s[0:1], 0x0
	v_subrev_co_u32_e32 v1, vcc, s67, v0
	v_subb_co_u32_e64 v2, s[0:1], 0, 0, vcc
	s_waitcnt lgkmcnt(0)
	s_sub_u32 s0, s6, s67
	v_mov_b32_e32 v3, s5
	v_add_co_u32_e32 v1, vcc, s4, v1
	s_subb_u32 s1, s7, 0
	v_addc_co_u32_e32 v2, vcc, v3, v2, vcc
	v_cmp_gt_i64_e32 vcc, s[0:1], v[1:2]
	s_and_saveexec_b64 s[2:3], vcc
	s_cbranch_execz .LBB40_30
; %bb.20:
	s_mov_b64 s[4:5], 0
	v_mov_b32_e32 v3, s15
	s_movk_i32 s15, 0x89
	s_branch .LBB40_22
.LBB40_21:                              ;   in Loop: Header=BB40_22 Depth=1
	s_or_b64 exec, exec, s[6:7]
	v_add_co_u32_e32 v1, vcc, 0x400, v1
	v_addc_co_u32_e32 v2, vcc, 0, v2, vcc
	v_cmp_le_i64_e32 vcc, s[0:1], v[1:2]
	s_or_b64 s[4:5], vcc, s[4:5]
	s_andn2_b64 exec, exec, s[4:5]
	s_cbranch_execz .LBB40_30
.LBB40_22:                              ; =>This Loop Header: Depth=1
                                        ;     Child Loop BB40_25 Depth 2
	v_lshlrev_b64 v[4:5], 2, v[1:2]
	s_mov_b64 s[6:7], 0
	v_add_co_u32_e32 v4, vcc, s14, v4
	v_addc_co_u32_e32 v5, vcc, v3, v5, vcc
	global_load_dword v4, v[4:5], off
                                        ; implicit-def: $sgpr8_sgpr9
	s_waitcnt vmcnt(0)
	v_subrev_u32_e32 v4, s67, v4
	v_mul_lo_u32 v5, v4, s15
	v_and_b32_e32 v5, 0x3fff, v5
	s_branch .LBB40_25
.LBB40_23:                              ;   in Loop: Header=BB40_25 Depth=2
	s_or_b64 exec, exec, s[12:13]
	s_andn2_b64 s[8:9], s[8:9], exec
	s_and_b64 s[12:13], s[16:17], exec
	s_or_b64 s[8:9], s[8:9], s[12:13]
.LBB40_24:                              ;   in Loop: Header=BB40_25 Depth=2
	s_or_b64 exec, exec, s[10:11]
	s_xor_b64 s[10:11], s[8:9], -1
	s_and_b64 s[10:11], exec, s[10:11]
	s_or_b64 s[6:7], s[10:11], s[6:7]
	s_andn2_b64 exec, exec, s[6:7]
	s_cbranch_execz .LBB40_21
.LBB40_25:                              ;   Parent Loop BB40_22 Depth=1
                                        ; =>  This Inner Loop Header: Depth=2
	v_lshl_add_u32 v6, v5, 2, 0
	ds_read_b32 v9, v6
	s_andn2_b64 s[8:9], s[8:9], exec
	s_waitcnt lgkmcnt(0)
	v_cmp_ne_u32_e32 vcc, v9, v4
	s_and_saveexec_b64 s[10:11], vcc
	s_cbranch_execz .LBB40_24
; %bb.26:                               ;   in Loop: Header=BB40_25 Depth=2
	v_cmp_ne_u32_e32 vcc, s33, v9
	s_and_saveexec_b64 s[12:13], vcc
	s_xor_b64 s[12:13], exec, s[12:13]
; %bb.27:                               ;   in Loop: Header=BB40_25 Depth=2
	v_add_u32_e32 v5, 1, v5
	v_and_b32_e32 v5, 0x3fff, v5
                                        ; implicit-def: $vgpr6
; %bb.28:                               ;   in Loop: Header=BB40_25 Depth=2
	s_or_saveexec_b64 s[12:13], s[12:13]
	s_mov_b64 s[16:17], -1
	s_xor_b64 exec, exec, s[12:13]
	s_cbranch_execz .LBB40_23
; %bb.29:                               ;   in Loop: Header=BB40_25 Depth=2
	v_mov_b32_e32 v9, s33
	ds_cmpst_rtn_b32 v6, v6, v9, v4
	s_waitcnt lgkmcnt(0)
	v_cmp_ne_u32_e32 vcc, s33, v6
	s_orn2_b64 s[16:17], vcc, exec
	s_branch .LBB40_23
.LBB40_30:
	s_or_b64 exec, exec, s[2:3]
.LBB40_31:
	v_writelane_b32 v17, s36, 2
	v_writelane_b32 v17, s37, 3
	;; [unrolled: 1-line block ×4, first 2 shown]
	s_add_i32 s0, 0, 0x10000
	v_writelane_b32 v17, s0, 6
	s_add_i32 s60, 0, 0x10004
	v_writelane_b32 v17, s60, 7
	;; [unrolled: 2-line block ×4, first 2 shown]
	s_add_i32 s60, 0, 0x10010
	v_mbcnt_lo_u32_b32 v1, -1, 0
	v_lshrrev_b32_e32 v3, 3, v0
	v_writelane_b32 v17, s60, 10
	s_add_i32 s60, 0, 0x10014
	v_mbcnt_hi_u32_b32 v1, -1, v1
	v_and_b32_e32 v3, 0x7c, v3
	v_writelane_b32 v17, s60, 11
	s_add_i32 s60, 0, 0x10018
	v_sub_u32_e32 v1, 63, v1
	v_add_u32_e32 v3, s0, v3
	s_movk_i32 s0, 0x3ff
	v_writelane_b32 v17, s60, 12
	s_add_i32 s60, 0, 0x1001c
	v_lshrrev_b64 v[1:2], v1, -1
	v_cmp_eq_u32_e32 vcc, s0, v0
	s_movk_i32 s0, 0x5f
	s_movk_i32 s2, 0x7f
	s_movk_i32 s4, 0x9f
	s_movk_i32 s6, 0xbf
	s_movk_i32 s8, 0xdf
	s_movk_i32 s10, 0xff
	s_movk_i32 s12, 0x11f
	s_movk_i32 s14, 0x13f
	s_movk_i32 s16, 0x15f
	s_movk_i32 s18, 0x17f
	s_movk_i32 s20, 0x19f
	s_movk_i32 s22, 0x1bf
	s_movk_i32 s24, 0x1df
	s_movk_i32 s26, 0x1ff
	s_movk_i32 s28, 0x21f
	s_movk_i32 s30, 0x23f
	s_movk_i32 s34, 0x25f
	s_movk_i32 s36, 0x27f
	s_movk_i32 s38, 0x29f
	s_movk_i32 s40, 0x2bf
	s_movk_i32 s42, 0x2df
	s_movk_i32 s44, 0x2ff
	s_movk_i32 s46, 0x31f
	s_movk_i32 s48, 0x33f
	s_movk_i32 s50, 0x35f
	s_movk_i32 s52, 0x37f
	s_movk_i32 s54, 0x39f
	s_movk_i32 s56, 0x3bf
	s_movk_i32 s58, 0x3df
	v_writelane_b32 v17, s60, 13
	s_add_i32 s60, 0, 0x10024
	v_cmp_lt_u32_e64 s[0:1], s0, v0
	v_cmp_lt_u32_e64 s[2:3], s2, v0
	;; [unrolled: 1-line block ×28, first 2 shown]
	v_mov_b32_e32 v4, 0
	v_cmp_lt_u32_e64 s[58:59], s58, v0
	s_add_i32 s83, 0, 0x10020
	v_writelane_b32 v17, s60, 14
	s_add_i32 s86, 0, 0x10028
	s_add_i32 s87, 0, 0x1002c
	;; [unrolled: 1-line block ×22, first 2 shown]
	v_cmp_lt_u32_e64 s[60:61], 31, v0
	v_cmp_lt_u32_e64 s[62:63], 63, v0
	s_mov_b64 s[74:75], 0
	s_barrier
	s_branch .LBB40_33
.LBB40_32:                              ;   in Loop: Header=BB40_33 Depth=1
	s_or_b64 exec, exec, s[64:65]
	v_mov_b32_e32 v5, s82
	s_waitcnt lgkmcnt(0)
	s_barrier
	ds_read_b32 v5, v5
	v_add_u32_e32 v7, 0x400, v7
	s_movk_i32 s64, 0x3bff
	v_cmp_lt_u32_e64 s[64:65], s64, v7
	s_or_b64 s[74:75], s[64:65], s[74:75]
	s_waitcnt lgkmcnt(0)
	v_add_u32_e32 v4, v5, v4
	v_add_u32_e32 v8, 0x1000, v8
	s_andn2_b64 exec, exec, s[74:75]
	s_cbranch_execz .LBB40_99
.LBB40_33:                              ; =>This Inner Loop Header: Depth=1
	ds_read_b32 v5, v8
	s_waitcnt lgkmcnt(0)
	s_barrier
	v_cmp_gt_i32_e64 s[64:65], s33, v5
	v_and_b32_e32 v9, s64, v1
	s_bcnt1_i32_b64 s76, s[64:65]
	v_and_b32_e32 v6, s65, v2
	v_bcnt_u32_b32 v9, v9, 0
	v_bcnt_u32_b32 v6, v6, v9
	v_mov_b32_e32 v9, s76
	ds_write_b32 v3, v9
	s_waitcnt lgkmcnt(0)
	s_barrier
	s_and_saveexec_b64 s[76:77], s[60:61]
	s_cbranch_execnz .LBB40_66
; %bb.34:                               ;   in Loop: Header=BB40_33 Depth=1
	s_or_b64 exec, exec, s[76:77]
	s_and_saveexec_b64 s[76:77], s[62:63]
	s_cbranch_execnz .LBB40_67
.LBB40_35:                              ;   in Loop: Header=BB40_33 Depth=1
	s_or_b64 exec, exec, s[76:77]
	s_and_saveexec_b64 s[76:77], s[0:1]
	s_cbranch_execnz .LBB40_68
.LBB40_36:                              ;   in Loop: Header=BB40_33 Depth=1
	s_or_b64 exec, exec, s[76:77]
	s_and_saveexec_b64 s[76:77], s[2:3]
	s_cbranch_execnz .LBB40_69
.LBB40_37:                              ;   in Loop: Header=BB40_33 Depth=1
	s_or_b64 exec, exec, s[76:77]
	s_and_saveexec_b64 s[76:77], s[4:5]
	s_cbranch_execnz .LBB40_70
.LBB40_38:                              ;   in Loop: Header=BB40_33 Depth=1
	s_or_b64 exec, exec, s[76:77]
	s_and_saveexec_b64 s[76:77], s[6:7]
	s_cbranch_execnz .LBB40_71
.LBB40_39:                              ;   in Loop: Header=BB40_33 Depth=1
	s_or_b64 exec, exec, s[76:77]
	s_and_saveexec_b64 s[76:77], s[8:9]
	s_cbranch_execnz .LBB40_72
.LBB40_40:                              ;   in Loop: Header=BB40_33 Depth=1
	s_or_b64 exec, exec, s[76:77]
	s_and_saveexec_b64 s[76:77], s[10:11]
	s_cbranch_execnz .LBB40_73
.LBB40_41:                              ;   in Loop: Header=BB40_33 Depth=1
	s_or_b64 exec, exec, s[76:77]
	s_and_saveexec_b64 s[76:77], s[12:13]
	s_cbranch_execnz .LBB40_74
.LBB40_42:                              ;   in Loop: Header=BB40_33 Depth=1
	s_or_b64 exec, exec, s[76:77]
	s_and_saveexec_b64 s[76:77], s[14:15]
	s_cbranch_execnz .LBB40_75
.LBB40_43:                              ;   in Loop: Header=BB40_33 Depth=1
	s_or_b64 exec, exec, s[76:77]
	s_and_saveexec_b64 s[76:77], s[16:17]
	s_cbranch_execnz .LBB40_76
.LBB40_44:                              ;   in Loop: Header=BB40_33 Depth=1
	s_or_b64 exec, exec, s[76:77]
	s_and_saveexec_b64 s[76:77], s[18:19]
	s_cbranch_execnz .LBB40_77
.LBB40_45:                              ;   in Loop: Header=BB40_33 Depth=1
	s_or_b64 exec, exec, s[76:77]
	s_and_saveexec_b64 s[76:77], s[20:21]
	s_cbranch_execnz .LBB40_78
.LBB40_46:                              ;   in Loop: Header=BB40_33 Depth=1
	s_or_b64 exec, exec, s[76:77]
	s_and_saveexec_b64 s[76:77], s[22:23]
	s_cbranch_execnz .LBB40_79
.LBB40_47:                              ;   in Loop: Header=BB40_33 Depth=1
	s_or_b64 exec, exec, s[76:77]
	s_and_saveexec_b64 s[76:77], s[24:25]
	s_cbranch_execnz .LBB40_80
.LBB40_48:                              ;   in Loop: Header=BB40_33 Depth=1
	s_or_b64 exec, exec, s[76:77]
	s_and_saveexec_b64 s[76:77], s[26:27]
	s_cbranch_execnz .LBB40_81
.LBB40_49:                              ;   in Loop: Header=BB40_33 Depth=1
	s_or_b64 exec, exec, s[76:77]
	s_and_saveexec_b64 s[76:77], s[28:29]
	s_cbranch_execnz .LBB40_82
.LBB40_50:                              ;   in Loop: Header=BB40_33 Depth=1
	s_or_b64 exec, exec, s[76:77]
	s_and_saveexec_b64 s[76:77], s[30:31]
	s_cbranch_execnz .LBB40_83
.LBB40_51:                              ;   in Loop: Header=BB40_33 Depth=1
	s_or_b64 exec, exec, s[76:77]
	s_and_saveexec_b64 s[76:77], s[34:35]
	s_cbranch_execnz .LBB40_84
.LBB40_52:                              ;   in Loop: Header=BB40_33 Depth=1
	s_or_b64 exec, exec, s[76:77]
	s_and_saveexec_b64 s[76:77], s[36:37]
	s_cbranch_execnz .LBB40_85
.LBB40_53:                              ;   in Loop: Header=BB40_33 Depth=1
	s_or_b64 exec, exec, s[76:77]
	s_and_saveexec_b64 s[76:77], s[38:39]
	s_cbranch_execnz .LBB40_86
.LBB40_54:                              ;   in Loop: Header=BB40_33 Depth=1
	s_or_b64 exec, exec, s[76:77]
	s_and_saveexec_b64 s[76:77], s[40:41]
	s_cbranch_execnz .LBB40_87
.LBB40_55:                              ;   in Loop: Header=BB40_33 Depth=1
	s_or_b64 exec, exec, s[76:77]
	s_and_saveexec_b64 s[76:77], s[42:43]
	s_cbranch_execnz .LBB40_88
.LBB40_56:                              ;   in Loop: Header=BB40_33 Depth=1
	s_or_b64 exec, exec, s[76:77]
	s_and_saveexec_b64 s[76:77], s[44:45]
	s_cbranch_execnz .LBB40_89
.LBB40_57:                              ;   in Loop: Header=BB40_33 Depth=1
	s_or_b64 exec, exec, s[76:77]
	s_and_saveexec_b64 s[76:77], s[46:47]
	s_cbranch_execnz .LBB40_90
.LBB40_58:                              ;   in Loop: Header=BB40_33 Depth=1
	s_or_b64 exec, exec, s[76:77]
	s_and_saveexec_b64 s[76:77], s[48:49]
	s_cbranch_execnz .LBB40_91
.LBB40_59:                              ;   in Loop: Header=BB40_33 Depth=1
	s_or_b64 exec, exec, s[76:77]
	s_and_saveexec_b64 s[76:77], s[50:51]
	s_cbranch_execnz .LBB40_92
.LBB40_60:                              ;   in Loop: Header=BB40_33 Depth=1
	s_or_b64 exec, exec, s[76:77]
	s_and_saveexec_b64 s[76:77], s[52:53]
	s_cbranch_execnz .LBB40_93
.LBB40_61:                              ;   in Loop: Header=BB40_33 Depth=1
	s_or_b64 exec, exec, s[76:77]
	s_and_saveexec_b64 s[76:77], s[54:55]
	s_cbranch_execnz .LBB40_94
.LBB40_62:                              ;   in Loop: Header=BB40_33 Depth=1
	s_or_b64 exec, exec, s[76:77]
	s_and_saveexec_b64 s[76:77], s[56:57]
	s_cbranch_execnz .LBB40_95
.LBB40_63:                              ;   in Loop: Header=BB40_33 Depth=1
	s_or_b64 exec, exec, s[76:77]
	s_and_saveexec_b64 s[76:77], s[58:59]
	s_cbranch_execnz .LBB40_96
.LBB40_64:                              ;   in Loop: Header=BB40_33 Depth=1
	s_or_b64 exec, exec, s[76:77]
	s_and_saveexec_b64 s[76:77], s[64:65]
	s_cbranch_execnz .LBB40_97
.LBB40_65:                              ;   in Loop: Header=BB40_33 Depth=1
	s_or_b64 exec, exec, s[76:77]
	s_and_saveexec_b64 s[64:65], vcc
	s_cbranch_execz .LBB40_32
	s_branch .LBB40_98
.LBB40_66:                              ;   in Loop: Header=BB40_33 Depth=1
	v_readlane_b32 s84, v17, 6
	v_mov_b32_e32 v9, s84
	ds_read_b32 v9, v9
	s_waitcnt lgkmcnt(0)
	v_add_u32_e32 v6, v9, v6
	s_or_b64 exec, exec, s[76:77]
	s_and_saveexec_b64 s[76:77], s[62:63]
	s_cbranch_execz .LBB40_35
.LBB40_67:                              ;   in Loop: Header=BB40_33 Depth=1
	v_readlane_b32 s84, v17, 7
	v_mov_b32_e32 v9, s84
	ds_read_b32 v9, v9
	s_waitcnt lgkmcnt(0)
	v_add_u32_e32 v6, v9, v6
	s_or_b64 exec, exec, s[76:77]
	s_and_saveexec_b64 s[76:77], s[0:1]
	s_cbranch_execz .LBB40_36
.LBB40_68:                              ;   in Loop: Header=BB40_33 Depth=1
	v_readlane_b32 s84, v17, 8
	v_mov_b32_e32 v9, s84
	ds_read_b32 v9, v9
	s_waitcnt lgkmcnt(0)
	v_add_u32_e32 v6, v9, v6
	s_or_b64 exec, exec, s[76:77]
	s_and_saveexec_b64 s[76:77], s[2:3]
	s_cbranch_execz .LBB40_37
.LBB40_69:                              ;   in Loop: Header=BB40_33 Depth=1
	v_readlane_b32 s84, v17, 9
	v_mov_b32_e32 v9, s84
	ds_read_b32 v9, v9
	s_waitcnt lgkmcnt(0)
	v_add_u32_e32 v6, v9, v6
	s_or_b64 exec, exec, s[76:77]
	s_and_saveexec_b64 s[76:77], s[4:5]
	s_cbranch_execz .LBB40_38
.LBB40_70:                              ;   in Loop: Header=BB40_33 Depth=1
	v_readlane_b32 s84, v17, 10
	v_mov_b32_e32 v9, s84
	ds_read_b32 v9, v9
	s_waitcnt lgkmcnt(0)
	v_add_u32_e32 v6, v9, v6
	s_or_b64 exec, exec, s[76:77]
	s_and_saveexec_b64 s[76:77], s[6:7]
	s_cbranch_execz .LBB40_39
.LBB40_71:                              ;   in Loop: Header=BB40_33 Depth=1
	v_readlane_b32 s84, v17, 11
	v_mov_b32_e32 v9, s84
	ds_read_b32 v9, v9
	s_waitcnt lgkmcnt(0)
	v_add_u32_e32 v6, v9, v6
	s_or_b64 exec, exec, s[76:77]
	s_and_saveexec_b64 s[76:77], s[8:9]
	s_cbranch_execz .LBB40_40
.LBB40_72:                              ;   in Loop: Header=BB40_33 Depth=1
	v_readlane_b32 s84, v17, 12
	v_mov_b32_e32 v9, s84
	ds_read_b32 v9, v9
	s_waitcnt lgkmcnt(0)
	v_add_u32_e32 v6, v9, v6
	s_or_b64 exec, exec, s[76:77]
	s_and_saveexec_b64 s[76:77], s[10:11]
	s_cbranch_execz .LBB40_41
.LBB40_73:                              ;   in Loop: Header=BB40_33 Depth=1
	v_readlane_b32 s84, v17, 13
	v_mov_b32_e32 v9, s84
	ds_read_b32 v9, v9
	s_waitcnt lgkmcnt(0)
	v_add_u32_e32 v6, v9, v6
	s_or_b64 exec, exec, s[76:77]
	s_and_saveexec_b64 s[76:77], s[12:13]
	s_cbranch_execz .LBB40_42
.LBB40_74:                              ;   in Loop: Header=BB40_33 Depth=1
	v_mov_b32_e32 v9, s83
	ds_read_b32 v9, v9
	s_waitcnt lgkmcnt(0)
	v_add_u32_e32 v6, v9, v6
	s_or_b64 exec, exec, s[76:77]
	s_and_saveexec_b64 s[76:77], s[14:15]
	s_cbranch_execz .LBB40_43
.LBB40_75:                              ;   in Loop: Header=BB40_33 Depth=1
	v_readlane_b32 s84, v17, 14
	v_mov_b32_e32 v9, s84
	ds_read_b32 v9, v9
	s_waitcnt lgkmcnt(0)
	v_add_u32_e32 v6, v9, v6
	s_or_b64 exec, exec, s[76:77]
	s_and_saveexec_b64 s[76:77], s[16:17]
	s_cbranch_execz .LBB40_44
.LBB40_76:                              ;   in Loop: Header=BB40_33 Depth=1
	v_mov_b32_e32 v9, s86
	ds_read_b32 v9, v9
	s_waitcnt lgkmcnt(0)
	v_add_u32_e32 v6, v9, v6
	s_or_b64 exec, exec, s[76:77]
	s_and_saveexec_b64 s[76:77], s[18:19]
	s_cbranch_execz .LBB40_45
.LBB40_77:                              ;   in Loop: Header=BB40_33 Depth=1
	v_mov_b32_e32 v9, s87
	ds_read_b32 v9, v9
	s_waitcnt lgkmcnt(0)
	v_add_u32_e32 v6, v9, v6
	s_or_b64 exec, exec, s[76:77]
	s_and_saveexec_b64 s[76:77], s[20:21]
	s_cbranch_execz .LBB40_46
.LBB40_78:                              ;   in Loop: Header=BB40_33 Depth=1
	v_mov_b32_e32 v9, s88
	ds_read_b32 v9, v9
	s_waitcnt lgkmcnt(0)
	v_add_u32_e32 v6, v9, v6
	s_or_b64 exec, exec, s[76:77]
	s_and_saveexec_b64 s[76:77], s[22:23]
	s_cbranch_execz .LBB40_47
.LBB40_79:                              ;   in Loop: Header=BB40_33 Depth=1
	v_mov_b32_e32 v9, s89
	ds_read_b32 v9, v9
	s_waitcnt lgkmcnt(0)
	v_add_u32_e32 v6, v9, v6
	s_or_b64 exec, exec, s[76:77]
	s_and_saveexec_b64 s[76:77], s[24:25]
	s_cbranch_execz .LBB40_48
.LBB40_80:                              ;   in Loop: Header=BB40_33 Depth=1
	v_mov_b32_e32 v9, s90
	ds_read_b32 v9, v9
	s_waitcnt lgkmcnt(0)
	v_add_u32_e32 v6, v9, v6
	s_or_b64 exec, exec, s[76:77]
	s_and_saveexec_b64 s[76:77], s[26:27]
	s_cbranch_execz .LBB40_49
.LBB40_81:                              ;   in Loop: Header=BB40_33 Depth=1
	v_mov_b32_e32 v9, s91
	ds_read_b32 v9, v9
	s_waitcnt lgkmcnt(0)
	v_add_u32_e32 v6, v9, v6
	s_or_b64 exec, exec, s[76:77]
	s_and_saveexec_b64 s[76:77], s[28:29]
	s_cbranch_execz .LBB40_50
.LBB40_82:                              ;   in Loop: Header=BB40_33 Depth=1
	v_mov_b32_e32 v9, s92
	ds_read_b32 v9, v9
	s_waitcnt lgkmcnt(0)
	v_add_u32_e32 v6, v9, v6
	s_or_b64 exec, exec, s[76:77]
	s_and_saveexec_b64 s[76:77], s[30:31]
	s_cbranch_execz .LBB40_51
.LBB40_83:                              ;   in Loop: Header=BB40_33 Depth=1
	v_mov_b32_e32 v9, s93
	ds_read_b32 v9, v9
	s_waitcnt lgkmcnt(0)
	v_add_u32_e32 v6, v9, v6
	s_or_b64 exec, exec, s[76:77]
	s_and_saveexec_b64 s[76:77], s[34:35]
	s_cbranch_execz .LBB40_52
.LBB40_84:                              ;   in Loop: Header=BB40_33 Depth=1
	v_mov_b32_e32 v9, s94
	ds_read_b32 v9, v9
	s_waitcnt lgkmcnt(0)
	v_add_u32_e32 v6, v9, v6
	s_or_b64 exec, exec, s[76:77]
	s_and_saveexec_b64 s[76:77], s[36:37]
	s_cbranch_execz .LBB40_53
.LBB40_85:                              ;   in Loop: Header=BB40_33 Depth=1
	v_mov_b32_e32 v9, s95
	ds_read_b32 v9, v9
	s_waitcnt lgkmcnt(0)
	v_add_u32_e32 v6, v9, v6
	s_or_b64 exec, exec, s[76:77]
	s_and_saveexec_b64 s[76:77], s[38:39]
	s_cbranch_execz .LBB40_54
.LBB40_86:                              ;   in Loop: Header=BB40_33 Depth=1
	v_mov_b32_e32 v9, s72
	ds_read_b32 v9, v9
	s_waitcnt lgkmcnt(0)
	v_add_u32_e32 v6, v9, v6
	s_or_b64 exec, exec, s[76:77]
	s_and_saveexec_b64 s[76:77], s[40:41]
	s_cbranch_execz .LBB40_55
.LBB40_87:                              ;   in Loop: Header=BB40_33 Depth=1
	v_mov_b32_e32 v9, s68
	ds_read_b32 v9, v9
	s_waitcnt lgkmcnt(0)
	v_add_u32_e32 v6, v9, v6
	s_or_b64 exec, exec, s[76:77]
	s_and_saveexec_b64 s[76:77], s[42:43]
	s_cbranch_execz .LBB40_56
.LBB40_88:                              ;   in Loop: Header=BB40_33 Depth=1
	v_mov_b32_e32 v9, s69
	ds_read_b32 v9, v9
	s_waitcnt lgkmcnt(0)
	v_add_u32_e32 v6, v9, v6
	s_or_b64 exec, exec, s[76:77]
	s_and_saveexec_b64 s[76:77], s[44:45]
	s_cbranch_execz .LBB40_57
.LBB40_89:                              ;   in Loop: Header=BB40_33 Depth=1
	v_mov_b32_e32 v9, s70
	ds_read_b32 v9, v9
	s_waitcnt lgkmcnt(0)
	v_add_u32_e32 v6, v9, v6
	s_or_b64 exec, exec, s[76:77]
	s_and_saveexec_b64 s[76:77], s[46:47]
	s_cbranch_execz .LBB40_58
.LBB40_90:                              ;   in Loop: Header=BB40_33 Depth=1
	v_mov_b32_e32 v9, s71
	ds_read_b32 v9, v9
	s_waitcnt lgkmcnt(0)
	v_add_u32_e32 v6, v9, v6
	s_or_b64 exec, exec, s[76:77]
	s_and_saveexec_b64 s[76:77], s[48:49]
	s_cbranch_execz .LBB40_59
.LBB40_91:                              ;   in Loop: Header=BB40_33 Depth=1
	v_mov_b32_e32 v9, s67
	ds_read_b32 v9, v9
	s_waitcnt lgkmcnt(0)
	v_add_u32_e32 v6, v9, v6
	s_or_b64 exec, exec, s[76:77]
	s_and_saveexec_b64 s[76:77], s[50:51]
	s_cbranch_execz .LBB40_60
.LBB40_92:                              ;   in Loop: Header=BB40_33 Depth=1
	v_mov_b32_e32 v9, s73
	ds_read_b32 v9, v9
	s_waitcnt lgkmcnt(0)
	v_add_u32_e32 v6, v9, v6
	s_or_b64 exec, exec, s[76:77]
	s_and_saveexec_b64 s[76:77], s[52:53]
	s_cbranch_execz .LBB40_61
.LBB40_93:                              ;   in Loop: Header=BB40_33 Depth=1
	v_mov_b32_e32 v9, s78
	ds_read_b32 v9, v9
	s_waitcnt lgkmcnt(0)
	v_add_u32_e32 v6, v9, v6
	s_or_b64 exec, exec, s[76:77]
	s_and_saveexec_b64 s[76:77], s[54:55]
	s_cbranch_execz .LBB40_62
.LBB40_94:                              ;   in Loop: Header=BB40_33 Depth=1
	v_mov_b32_e32 v9, s79
	ds_read_b32 v9, v9
	s_waitcnt lgkmcnt(0)
	v_add_u32_e32 v6, v9, v6
	s_or_b64 exec, exec, s[76:77]
	s_and_saveexec_b64 s[76:77], s[56:57]
	s_cbranch_execz .LBB40_63
.LBB40_95:                              ;   in Loop: Header=BB40_33 Depth=1
	v_mov_b32_e32 v9, s80
	ds_read_b32 v9, v9
	s_waitcnt lgkmcnt(0)
	v_add_u32_e32 v6, v9, v6
	s_or_b64 exec, exec, s[76:77]
	s_and_saveexec_b64 s[76:77], s[58:59]
	s_cbranch_execz .LBB40_64
.LBB40_96:                              ;   in Loop: Header=BB40_33 Depth=1
	v_mov_b32_e32 v9, s81
	ds_read_b32 v9, v9
	s_waitcnt lgkmcnt(0)
	v_add_u32_e32 v6, v9, v6
	s_or_b64 exec, exec, s[76:77]
	s_and_saveexec_b64 s[76:77], s[64:65]
	s_cbranch_execz .LBB40_65
.LBB40_97:                              ;   in Loop: Header=BB40_33 Depth=1
	v_lshlrev_b32_e32 v9, 2, v4
	v_add_u32_e32 v9, 0, v9
	v_lshlrev_b32_e32 v10, 2, v6
	v_add3_u32 v9, v9, v10, -4
	ds_write_b32 v9, v5
	s_or_b64 exec, exec, s[76:77]
	s_and_saveexec_b64 s[64:65], vcc
	s_cbranch_execz .LBB40_32
.LBB40_98:                              ;   in Loop: Header=BB40_33 Depth=1
	v_mov_b32_e32 v5, s82
	ds_write_b32 v5, v6
	s_branch .LBB40_32
.LBB40_99:
	s_or_b64 exec, exec, s[74:75]
	v_readlane_b32 s0, v17, 0
	v_readlane_b32 s1, v17, 1
	s_ashr_i32 s1, s0, 31
	s_lshl_b64 s[0:1], s[0:1], 3
	v_readlane_b32 s12, v17, 2
	v_readlane_b32 s13, v17, 3
	s_add_u32 s4, s12, s0
	s_addc_u32 s5, s13, s1
	s_load_dwordx4 s[0:3], s[4:5], 0x0
	v_readlane_b32 s14, v17, 4
	v_readlane_b32 s15, v17, 5
	s_waitcnt lgkmcnt(0)
	s_sub_i32 s8, s2, s0
	v_cmp_gt_i32_e32 vcc, s8, v0
	s_and_saveexec_b64 s[4:5], vcc
	s_cbranch_execz .LBB40_109
; %bb.100:
	s_sub_u32 s4, s0, s66
	s_subb_u32 s5, s1, 0
	s_and_b32 s9, s8, 7
	s_sub_i32 s0, s0, s2
	s_cmp_lt_u32 s0, -7
	s_cselect_b64 s[0:1], -1, 0
	s_and_b32 s10, s8, -8
	s_cmp_lg_u32 s9, 0
	v_cndmask_b32_e64 v1, 0, 1, s[0:1]
	s_mov_b64 s[2:3], 0
	s_cselect_b64 s[6:7], -1, 0
	v_cmp_ne_u32_e64 s[0:1], 1, v1
	s_branch .LBB40_102
.LBB40_101:                             ;   in Loop: Header=BB40_102 Depth=1
	v_lshlrev_b64 v[1:2], 2, v[1:2]
	v_mov_b32_e32 v4, s15
	v_add_co_u32_e32 v1, vcc, s14, v1
	v_addc_co_u32_e32 v2, vcc, v4, v2, vcc
	v_add_u32_e32 v0, 0x400, v0
	v_cmp_le_i32_e32 vcc, s8, v0
	s_waitcnt lgkmcnt(0)
	v_add_u32_e32 v3, s66, v3
	s_or_b64 s[2:3], vcc, s[2:3]
	global_store_dword v[1:2], v3, off
	s_andn2_b64 exec, exec, s[2:3]
	s_cbranch_execz .LBB40_109
.LBB40_102:                             ; =>This Loop Header: Depth=1
                                        ;     Child Loop BB40_104 Depth 2
                                        ;     Child Loop BB40_108 Depth 2
	v_lshl_add_u32 v1, v0, 2, 0
	ds_read_b32 v3, v1
	v_mov_b32_e32 v1, s4
	s_and_b64 vcc, exec, s[0:1]
	v_mov_b32_e32 v2, s5
	s_mov_b32 s11, 0
	s_cbranch_vccnz .LBB40_106
; %bb.103:                              ;   in Loop: Header=BB40_102 Depth=1
	v_mov_b32_e32 v1, s4
	s_mov_b32 s12, 0
	v_mov_b32_e32 v2, s5
.LBB40_104:                             ;   Parent Loop BB40_102 Depth=1
                                        ; =>  This Inner Loop Header: Depth=2
	v_mov_b32_e32 v10, s12
	ds_read2_b32 v[4:5], v10 offset1:1
	ds_read2_b32 v[6:7], v10 offset0:2 offset1:3
	ds_read2_b32 v[8:9], v10 offset0:4 offset1:5
	;; [unrolled: 1-line block ×3, first 2 shown]
	s_add_i32 s11, s11, 8
	s_waitcnt lgkmcnt(3)
	v_cmp_gt_i32_e32 vcc, v3, v4
	v_cndmask_b32_e64 v4, 0, 1, vcc
	v_cmp_gt_i32_e32 vcc, v3, v5
	v_cndmask_b32_e64 v5, 0, 1, vcc
	s_waitcnt lgkmcnt(2)
	v_cmp_gt_i32_e32 vcc, v3, v6
	v_cndmask_b32_e64 v6, 0, 1, vcc
	v_cmp_gt_i32_e32 vcc, v3, v7
	v_cndmask_b32_e64 v7, 0, 1, vcc
	s_waitcnt lgkmcnt(1)
	v_cmp_gt_i32_e32 vcc, v3, v8
	v_cndmask_b32_e64 v8, 0, 1, vcc
	v_cmp_gt_i32_e32 vcc, v3, v9
	v_cndmask_b32_e64 v9, 0, 1, vcc
	s_waitcnt lgkmcnt(0)
	v_cmp_gt_i32_e32 vcc, v3, v10
	v_cndmask_b32_e64 v10, 0, 1, vcc
	v_cmp_gt_i32_e32 vcc, v3, v11
	v_cndmask_b32_e64 v11, 0, 1, vcc
	v_add_co_u32_e32 v1, vcc, v1, v4
	v_addc_co_u32_e32 v2, vcc, 0, v2, vcc
	v_add_co_u32_e32 v1, vcc, v1, v5
	v_addc_co_u32_e32 v2, vcc, 0, v2, vcc
	;; [unrolled: 2-line block ×7, first 2 shown]
	s_add_i32 s12, s12, 32
	v_add_co_u32_e32 v1, vcc, v1, v11
	s_cmp_eq_u32 s10, s11
	v_addc_co_u32_e32 v2, vcc, 0, v2, vcc
	s_cbranch_scc0 .LBB40_104
; %bb.105:                              ;   in Loop: Header=BB40_102 Depth=1
	s_mov_b32 s11, s10
.LBB40_106:                             ;   in Loop: Header=BB40_102 Depth=1
	s_andn2_b64 vcc, exec, s[6:7]
	s_cbranch_vccnz .LBB40_101
; %bb.107:                              ;   in Loop: Header=BB40_102 Depth=1
	s_lshl_b32 s11, s11, 2
	s_add_i32 s11, s11, 0
	s_mov_b32 s12, s9
.LBB40_108:                             ;   Parent Loop BB40_102 Depth=1
                                        ; =>  This Inner Loop Header: Depth=2
	v_mov_b32_e32 v4, s11
	ds_read_b32 v4, v4
	s_add_i32 s11, s11, 4
	s_add_i32 s12, s12, -1
	s_cmp_lg_u32 s12, 0
	s_waitcnt lgkmcnt(0)
	v_cmp_gt_i32_e32 vcc, v3, v4
	v_cndmask_b32_e64 v4, 0, 1, vcc
	v_add_co_u32_e32 v1, vcc, v1, v4
	v_addc_co_u32_e32 v2, vcc, 0, v2, vcc
	s_cbranch_scc1 .LBB40_108
	s_branch .LBB40_101
.LBB40_109:
	s_endpgm
	.section	.rodata,"a",@progbits
	.p2align	6, 0x0
	.amdhsa_kernel _ZN9rocsparseL35csrgemm_symbolic_fill_block_per_rowILj1024ELj64ELj16384ELj137ELj32EliEEvT5_PKS1_S3_PKT4_S3_S6_S3_S6_S3_S6_PS1_21rocsparse_index_base_S8_S8_S8_bb
		.amdhsa_group_segment_fixed_size 0
		.amdhsa_private_segment_fixed_size 0
		.amdhsa_kernarg_size 108
		.amdhsa_user_sgpr_count 6
		.amdhsa_user_sgpr_private_segment_buffer 1
		.amdhsa_user_sgpr_dispatch_ptr 0
		.amdhsa_user_sgpr_queue_ptr 0
		.amdhsa_user_sgpr_kernarg_segment_ptr 1
		.amdhsa_user_sgpr_dispatch_id 0
		.amdhsa_user_sgpr_flat_scratch_init 0
		.amdhsa_user_sgpr_private_segment_size 0
		.amdhsa_uses_dynamic_stack 0
		.amdhsa_system_sgpr_private_segment_wavefront_offset 0
		.amdhsa_system_sgpr_workgroup_id_x 1
		.amdhsa_system_sgpr_workgroup_id_y 0
		.amdhsa_system_sgpr_workgroup_id_z 0
		.amdhsa_system_sgpr_workgroup_info 0
		.amdhsa_system_vgpr_workitem_id 0
		.amdhsa_next_free_vgpr 18
		.amdhsa_next_free_sgpr 96
		.amdhsa_reserve_vcc 1
		.amdhsa_reserve_flat_scratch 0
		.amdhsa_float_round_mode_32 0
		.amdhsa_float_round_mode_16_64 0
		.amdhsa_float_denorm_mode_32 3
		.amdhsa_float_denorm_mode_16_64 3
		.amdhsa_dx10_clamp 1
		.amdhsa_ieee_mode 1
		.amdhsa_fp16_overflow 0
		.amdhsa_exception_fp_ieee_invalid_op 0
		.amdhsa_exception_fp_denorm_src 0
		.amdhsa_exception_fp_ieee_div_zero 0
		.amdhsa_exception_fp_ieee_overflow 0
		.amdhsa_exception_fp_ieee_underflow 0
		.amdhsa_exception_fp_ieee_inexact 0
		.amdhsa_exception_int_div_zero 0
	.end_amdhsa_kernel
	.section	.text._ZN9rocsparseL35csrgemm_symbolic_fill_block_per_rowILj1024ELj64ELj16384ELj137ELj32EliEEvT5_PKS1_S3_PKT4_S3_S6_S3_S6_S3_S6_PS1_21rocsparse_index_base_S8_S8_S8_bb,"axG",@progbits,_ZN9rocsparseL35csrgemm_symbolic_fill_block_per_rowILj1024ELj64ELj16384ELj137ELj32EliEEvT5_PKS1_S3_PKT4_S3_S6_S3_S6_S3_S6_PS1_21rocsparse_index_base_S8_S8_S8_bb,comdat
.Lfunc_end40:
	.size	_ZN9rocsparseL35csrgemm_symbolic_fill_block_per_rowILj1024ELj64ELj16384ELj137ELj32EliEEvT5_PKS1_S3_PKT4_S3_S6_S3_S6_S3_S6_PS1_21rocsparse_index_base_S8_S8_S8_bb, .Lfunc_end40-_ZN9rocsparseL35csrgemm_symbolic_fill_block_per_rowILj1024ELj64ELj16384ELj137ELj32EliEEvT5_PKS1_S3_PKT4_S3_S6_S3_S6_S3_S6_PS1_21rocsparse_index_base_S8_S8_S8_bb
                                        ; -- End function
	.set _ZN9rocsparseL35csrgemm_symbolic_fill_block_per_rowILj1024ELj64ELj16384ELj137ELj32EliEEvT5_PKS1_S3_PKT4_S3_S6_S3_S6_S3_S6_PS1_21rocsparse_index_base_S8_S8_S8_bb.num_vgpr, 18
	.set _ZN9rocsparseL35csrgemm_symbolic_fill_block_per_rowILj1024ELj64ELj16384ELj137ELj32EliEEvT5_PKS1_S3_PKT4_S3_S6_S3_S6_S3_S6_PS1_21rocsparse_index_base_S8_S8_S8_bb.num_agpr, 0
	.set _ZN9rocsparseL35csrgemm_symbolic_fill_block_per_rowILj1024ELj64ELj16384ELj137ELj32EliEEvT5_PKS1_S3_PKT4_S3_S6_S3_S6_S3_S6_PS1_21rocsparse_index_base_S8_S8_S8_bb.numbered_sgpr, 96
	.set _ZN9rocsparseL35csrgemm_symbolic_fill_block_per_rowILj1024ELj64ELj16384ELj137ELj32EliEEvT5_PKS1_S3_PKT4_S3_S6_S3_S6_S3_S6_PS1_21rocsparse_index_base_S8_S8_S8_bb.num_named_barrier, 0
	.set _ZN9rocsparseL35csrgemm_symbolic_fill_block_per_rowILj1024ELj64ELj16384ELj137ELj32EliEEvT5_PKS1_S3_PKT4_S3_S6_S3_S6_S3_S6_PS1_21rocsparse_index_base_S8_S8_S8_bb.private_seg_size, 0
	.set _ZN9rocsparseL35csrgemm_symbolic_fill_block_per_rowILj1024ELj64ELj16384ELj137ELj32EliEEvT5_PKS1_S3_PKT4_S3_S6_S3_S6_S3_S6_PS1_21rocsparse_index_base_S8_S8_S8_bb.uses_vcc, 1
	.set _ZN9rocsparseL35csrgemm_symbolic_fill_block_per_rowILj1024ELj64ELj16384ELj137ELj32EliEEvT5_PKS1_S3_PKT4_S3_S6_S3_S6_S3_S6_PS1_21rocsparse_index_base_S8_S8_S8_bb.uses_flat_scratch, 0
	.set _ZN9rocsparseL35csrgemm_symbolic_fill_block_per_rowILj1024ELj64ELj16384ELj137ELj32EliEEvT5_PKS1_S3_PKT4_S3_S6_S3_S6_S3_S6_PS1_21rocsparse_index_base_S8_S8_S8_bb.has_dyn_sized_stack, 0
	.set _ZN9rocsparseL35csrgemm_symbolic_fill_block_per_rowILj1024ELj64ELj16384ELj137ELj32EliEEvT5_PKS1_S3_PKT4_S3_S6_S3_S6_S3_S6_PS1_21rocsparse_index_base_S8_S8_S8_bb.has_recursion, 0
	.set _ZN9rocsparseL35csrgemm_symbolic_fill_block_per_rowILj1024ELj64ELj16384ELj137ELj32EliEEvT5_PKS1_S3_PKT4_S3_S6_S3_S6_S3_S6_PS1_21rocsparse_index_base_S8_S8_S8_bb.has_indirect_call, 0
	.section	.AMDGPU.csdata,"",@progbits
; Kernel info:
; codeLenInByte = 4136
; TotalNumSgprs: 100
; NumVgprs: 18
; ScratchSize: 0
; MemoryBound: 0
; FloatMode: 240
; IeeeMode: 1
; LDSByteSize: 0 bytes/workgroup (compile time only)
; SGPRBlocks: 12
; VGPRBlocks: 4
; NumSGPRsForWavesPerEU: 100
; NumVGPRsForWavesPerEU: 18
; Occupancy: 8
; WaveLimiterHint : 1
; COMPUTE_PGM_RSRC2:SCRATCH_EN: 0
; COMPUTE_PGM_RSRC2:USER_SGPR: 6
; COMPUTE_PGM_RSRC2:TRAP_HANDLER: 0
; COMPUTE_PGM_RSRC2:TGID_X_EN: 1
; COMPUTE_PGM_RSRC2:TGID_Y_EN: 0
; COMPUTE_PGM_RSRC2:TGID_Z_EN: 0
; COMPUTE_PGM_RSRC2:TIDIG_COMP_CNT: 0
	.section	.text._ZN9rocsparseL35csrgemm_symbolic_fill_block_per_rowILj1024ELj64ELj16384ELj137ELj64EliEEvT5_PKS1_S3_PKT4_S3_S6_S3_S6_S3_S6_PS1_21rocsparse_index_base_S8_S8_S8_bb,"axG",@progbits,_ZN9rocsparseL35csrgemm_symbolic_fill_block_per_rowILj1024ELj64ELj16384ELj137ELj64EliEEvT5_PKS1_S3_PKT4_S3_S6_S3_S6_S3_S6_PS1_21rocsparse_index_base_S8_S8_S8_bb,comdat
	.globl	_ZN9rocsparseL35csrgemm_symbolic_fill_block_per_rowILj1024ELj64ELj16384ELj137ELj64EliEEvT5_PKS1_S3_PKT4_S3_S6_S3_S6_S3_S6_PS1_21rocsparse_index_base_S8_S8_S8_bb ; -- Begin function _ZN9rocsparseL35csrgemm_symbolic_fill_block_per_rowILj1024ELj64ELj16384ELj137ELj64EliEEvT5_PKS1_S3_PKT4_S3_S6_S3_S6_S3_S6_PS1_21rocsparse_index_base_S8_S8_S8_bb
	.p2align	8
	.type	_ZN9rocsparseL35csrgemm_symbolic_fill_block_per_rowILj1024ELj64ELj16384ELj137ELj64EliEEvT5_PKS1_S3_PKT4_S3_S6_S3_S6_S3_S6_PS1_21rocsparse_index_base_S8_S8_S8_bb,@function
_ZN9rocsparseL35csrgemm_symbolic_fill_block_per_rowILj1024ELj64ELj16384ELj137ELj64EliEEvT5_PKS1_S3_PKT4_S3_S6_S3_S6_S3_S6_PS1_21rocsparse_index_base_S8_S8_S8_bb: ; @_ZN9rocsparseL35csrgemm_symbolic_fill_block_per_rowILj1024ELj64ELj16384ELj137ELj64EliEEvT5_PKS1_S3_PKT4_S3_S6_S3_S6_S3_S6_PS1_21rocsparse_index_base_S8_S8_S8_bb
; %bb.0:
	s_load_dwordx4 s[36:39], s[4:5], 0x48
	s_load_dwordx8 s[8:15], s[4:5], 0x28
	s_load_dword s33, s[4:5], 0x0
	s_load_dwordx8 s[16:23], s[4:5], 0x8
	v_or_b32_e32 v7, 0xfffffc00, v0
	v_lshl_add_u32 v8, v0, 2, 0
	s_mov_b64 s[0:1], 0
	s_waitcnt lgkmcnt(0)
	v_mov_b32_e32 v1, s33
	s_movk_i32 s2, 0x3bff
	v_mov_b32_e32 v2, v8
	v_mov_b32_e32 v3, v7
.LBB41_1:                               ; =>This Inner Loop Header: Depth=1
	v_add_u32_e32 v3, 0x400, v3
	v_cmp_lt_u32_e32 vcc, s2, v3
	ds_write_b32 v2, v1
	s_or_b64 s[0:1], vcc, s[0:1]
	v_add_u32_e32 v2, 0x1000, v2
	s_andn2_b64 exec, exec, s[0:1]
	s_cbranch_execnz .LBB41_1
; %bb.2:
	s_or_b64 exec, exec, s[0:1]
	s_load_dword s30, s[4:5], 0x68
	s_waitcnt lgkmcnt(0)
	s_barrier
	s_load_dword s2, s[16:17], 0x0
	s_load_dwordx4 s[40:43], s[4:5], 0x58
	s_bitcmp1_b32 s30, 0
	s_cselect_b64 s[0:1], -1, 0
	s_mov_b32 s3, 0
	s_waitcnt lgkmcnt(0)
	s_add_i32 s2, s2, s6
	s_lshl_b64 s[2:3], s[2:3], 2
	s_add_u32 s2, s18, s2
	s_addc_u32 s3, s19, s3
	s_load_dword s34, s[2:3], 0x0
	v_lshrrev_b32_e32 v9, 6, v0
	s_and_b64 vcc, exec, s[0:1]
	s_cbranch_vccz .LBB41_18
; %bb.3:
	s_waitcnt lgkmcnt(0)
	s_ashr_i32 s35, s34, 31
	s_lshl_b64 s[0:1], s[34:35], 3
	s_add_u32 s0, s20, s0
	s_addc_u32 s1, s21, s1
	s_load_dwordx4 s[4:7], s[0:1], 0x0
	v_subrev_co_u32_e32 v1, vcc, s40, v9
	v_subb_co_u32_e64 v2, s[0:1], 0, 0, vcc
	s_waitcnt lgkmcnt(0)
	s_sub_u32 s0, s6, s40
	v_mov_b32_e32 v3, s5
	v_add_co_u32_e32 v1, vcc, s4, v1
	s_subb_u32 s1, s7, 0
	v_addc_co_u32_e32 v2, vcc, v3, v2, vcc
	v_cmp_gt_i64_e32 vcc, s[0:1], v[1:2]
	s_and_saveexec_b64 s[2:3], vcc
	s_cbranch_execz .LBB41_17
; %bb.4:
	v_and_b32_e32 v3, 63, v0
	v_subrev_co_u32_e32 v10, vcc, s41, v3
	v_subb_co_u32_e64 v11, s[4:5], 0, 0, vcc
	s_mov_b32 s31, s41
	s_mov_b64 s[4:5], 0
	v_mov_b32_e32 v12, s23
	v_mov_b32_e32 v13, s9
	s_movk_i32 s9, 0x89
	s_branch .LBB41_6
.LBB41_5:                               ;   in Loop: Header=BB41_6 Depth=1
	s_or_b64 exec, exec, s[6:7]
	v_add_co_u32_e32 v1, vcc, 16, v1
	v_addc_co_u32_e32 v2, vcc, 0, v2, vcc
	v_cmp_le_i64_e32 vcc, s[0:1], v[1:2]
	s_or_b64 s[4:5], vcc, s[4:5]
	s_andn2_b64 exec, exec, s[4:5]
	s_cbranch_execz .LBB41_17
.LBB41_6:                               ; =>This Loop Header: Depth=1
                                        ;     Child Loop BB41_9 Depth 2
                                        ;       Child Loop BB41_12 Depth 3
	v_lshlrev_b64 v[3:4], 2, v[1:2]
	v_add_co_u32_e32 v3, vcc, s22, v3
	v_addc_co_u32_e32 v4, vcc, v12, v4, vcc
	global_load_dword v3, v[3:4], off
	s_waitcnt vmcnt(0)
	v_subrev_u32_e32 v3, s40, v3
	v_ashrrev_i32_e32 v4, 31, v3
	v_lshlrev_b64 v[3:4], 3, v[3:4]
	v_add_co_u32_e32 v3, vcc, s8, v3
	v_addc_co_u32_e32 v4, vcc, v13, v4, vcc
	global_load_dwordx4 v[14:17], v[3:4], off
	s_waitcnt vmcnt(0)
	v_subrev_co_u32_e32 v3, vcc, s31, v16
	v_subbrev_co_u32_e32 v4, vcc, 0, v17, vcc
	v_add_co_u32_e32 v5, vcc, v14, v10
	v_addc_co_u32_e32 v6, vcc, v15, v11, vcc
	v_cmp_lt_i64_e32 vcc, v[5:6], v[3:4]
	s_and_saveexec_b64 s[6:7], vcc
	s_cbranch_execz .LBB41_5
; %bb.7:                                ;   in Loop: Header=BB41_6 Depth=1
	s_mov_b64 s[16:17], 0
	s_branch .LBB41_9
.LBB41_8:                               ;   in Loop: Header=BB41_9 Depth=2
	s_or_b64 exec, exec, s[18:19]
	v_add_co_u32_e32 v5, vcc, 64, v5
	v_addc_co_u32_e32 v6, vcc, 0, v6, vcc
	v_cmp_ge_i64_e32 vcc, v[5:6], v[3:4]
	s_or_b64 s[16:17], vcc, s[16:17]
	s_andn2_b64 exec, exec, s[16:17]
	s_cbranch_execz .LBB41_5
.LBB41_9:                               ;   Parent Loop BB41_6 Depth=1
                                        ; =>  This Loop Header: Depth=2
                                        ;       Child Loop BB41_12 Depth 3
	v_lshlrev_b64 v[14:15], 2, v[5:6]
	v_mov_b32_e32 v16, s11
	v_add_co_u32_e32 v14, vcc, s10, v14
	v_addc_co_u32_e32 v15, vcc, v16, v15, vcc
	global_load_dword v14, v[14:15], off
	s_mov_b64 s[18:19], 0
                                        ; implicit-def: $sgpr20_sgpr21
	s_waitcnt vmcnt(0)
	v_subrev_u32_e32 v14, s41, v14
	v_mul_lo_u32 v15, v14, s9
	v_and_b32_e32 v15, 0x3fff, v15
	s_branch .LBB41_12
.LBB41_10:                              ;   in Loop: Header=BB41_12 Depth=3
	s_or_b64 exec, exec, s[26:27]
	s_andn2_b64 s[20:21], s[20:21], exec
	s_and_b64 s[26:27], s[28:29], exec
	s_or_b64 s[20:21], s[20:21], s[26:27]
.LBB41_11:                              ;   in Loop: Header=BB41_12 Depth=3
	s_or_b64 exec, exec, s[24:25]
	s_xor_b64 s[24:25], s[20:21], -1
	s_and_b64 s[24:25], exec, s[24:25]
	s_or_b64 s[18:19], s[24:25], s[18:19]
	s_andn2_b64 exec, exec, s[18:19]
	s_cbranch_execz .LBB41_8
.LBB41_12:                              ;   Parent Loop BB41_6 Depth=1
                                        ;     Parent Loop BB41_9 Depth=2
                                        ; =>    This Inner Loop Header: Depth=3
	v_lshl_add_u32 v16, v15, 2, 0
	ds_read_b32 v17, v16
	s_andn2_b64 s[20:21], s[20:21], exec
	s_waitcnt lgkmcnt(0)
	v_cmp_ne_u32_e32 vcc, v17, v14
	s_and_saveexec_b64 s[24:25], vcc
	s_cbranch_execz .LBB41_11
; %bb.13:                               ;   in Loop: Header=BB41_12 Depth=3
	v_cmp_ne_u32_e32 vcc, s33, v17
	s_and_saveexec_b64 s[26:27], vcc
	s_xor_b64 s[26:27], exec, s[26:27]
; %bb.14:                               ;   in Loop: Header=BB41_12 Depth=3
	v_add_u32_e32 v15, 1, v15
	v_and_b32_e32 v15, 0x3fff, v15
                                        ; implicit-def: $vgpr16
; %bb.15:                               ;   in Loop: Header=BB41_12 Depth=3
	s_or_saveexec_b64 s[26:27], s[26:27]
	s_mov_b64 s[28:29], -1
	s_xor_b64 exec, exec, s[26:27]
	s_cbranch_execz .LBB41_10
; %bb.16:                               ;   in Loop: Header=BB41_12 Depth=3
	v_mov_b32_e32 v17, s33
	ds_cmpst_rtn_b32 v16, v16, v17, v14
	s_waitcnt lgkmcnt(0)
	v_cmp_ne_u32_e32 vcc, s33, v16
	s_orn2_b64 s[28:29], vcc, exec
	s_branch .LBB41_10
.LBB41_17:
	s_or_b64 exec, exec, s[2:3]
.LBB41_18:
	s_bfe_u32 s0, s30, 0x10008
	s_cmp_eq_u32 s0, 0
	s_cbranch_scc1 .LBB41_31
; %bb.19:
	s_waitcnt lgkmcnt(0)
	s_ashr_i32 s35, s34, 31
	s_lshl_b64 s[0:1], s[34:35], 3
	s_add_u32 s0, s12, s0
	s_addc_u32 s1, s13, s1
	s_load_dwordx4 s[4:7], s[0:1], 0x0
	v_subrev_co_u32_e32 v1, vcc, s43, v0
	v_subb_co_u32_e64 v2, s[0:1], 0, 0, vcc
	s_waitcnt lgkmcnt(0)
	s_sub_u32 s0, s6, s43
	v_mov_b32_e32 v3, s5
	v_add_co_u32_e32 v1, vcc, s4, v1
	s_subb_u32 s1, s7, 0
	v_addc_co_u32_e32 v2, vcc, v3, v2, vcc
	v_cmp_gt_i64_e32 vcc, s[0:1], v[1:2]
	s_and_saveexec_b64 s[2:3], vcc
	s_cbranch_execz .LBB41_30
; %bb.20:
	s_mov_b64 s[4:5], 0
	v_mov_b32_e32 v3, s15
	s_movk_i32 s15, 0x89
	s_branch .LBB41_22
.LBB41_21:                              ;   in Loop: Header=BB41_22 Depth=1
	s_or_b64 exec, exec, s[6:7]
	v_add_co_u32_e32 v1, vcc, 0x400, v1
	v_addc_co_u32_e32 v2, vcc, 0, v2, vcc
	v_cmp_le_i64_e32 vcc, s[0:1], v[1:2]
	s_or_b64 s[4:5], vcc, s[4:5]
	s_andn2_b64 exec, exec, s[4:5]
	s_cbranch_execz .LBB41_30
.LBB41_22:                              ; =>This Loop Header: Depth=1
                                        ;     Child Loop BB41_25 Depth 2
	v_lshlrev_b64 v[4:5], 2, v[1:2]
	s_mov_b64 s[6:7], 0
	v_add_co_u32_e32 v4, vcc, s14, v4
	v_addc_co_u32_e32 v5, vcc, v3, v5, vcc
	global_load_dword v4, v[4:5], off
                                        ; implicit-def: $sgpr8_sgpr9
	s_waitcnt vmcnt(0)
	v_subrev_u32_e32 v4, s43, v4
	v_mul_lo_u32 v5, v4, s15
	v_and_b32_e32 v5, 0x3fff, v5
	s_branch .LBB41_25
.LBB41_23:                              ;   in Loop: Header=BB41_25 Depth=2
	s_or_b64 exec, exec, s[12:13]
	s_andn2_b64 s[8:9], s[8:9], exec
	s_and_b64 s[12:13], s[16:17], exec
	s_or_b64 s[8:9], s[8:9], s[12:13]
.LBB41_24:                              ;   in Loop: Header=BB41_25 Depth=2
	s_or_b64 exec, exec, s[10:11]
	s_xor_b64 s[10:11], s[8:9], -1
	s_and_b64 s[10:11], exec, s[10:11]
	s_or_b64 s[6:7], s[10:11], s[6:7]
	s_andn2_b64 exec, exec, s[6:7]
	s_cbranch_execz .LBB41_21
.LBB41_25:                              ;   Parent Loop BB41_22 Depth=1
                                        ; =>  This Inner Loop Header: Depth=2
	v_lshl_add_u32 v6, v5, 2, 0
	ds_read_b32 v10, v6
	s_andn2_b64 s[8:9], s[8:9], exec
	s_waitcnt lgkmcnt(0)
	v_cmp_ne_u32_e32 vcc, v10, v4
	s_and_saveexec_b64 s[10:11], vcc
	s_cbranch_execz .LBB41_24
; %bb.26:                               ;   in Loop: Header=BB41_25 Depth=2
	v_cmp_ne_u32_e32 vcc, s33, v10
	s_and_saveexec_b64 s[12:13], vcc
	s_xor_b64 s[12:13], exec, s[12:13]
; %bb.27:                               ;   in Loop: Header=BB41_25 Depth=2
	v_add_u32_e32 v5, 1, v5
	v_and_b32_e32 v5, 0x3fff, v5
                                        ; implicit-def: $vgpr6
; %bb.28:                               ;   in Loop: Header=BB41_25 Depth=2
	s_or_saveexec_b64 s[12:13], s[12:13]
	s_mov_b64 s[16:17], -1
	s_xor_b64 exec, exec, s[12:13]
	s_cbranch_execz .LBB41_23
; %bb.29:                               ;   in Loop: Header=BB41_25 Depth=2
	v_mov_b32_e32 v10, s33
	ds_cmpst_rtn_b32 v6, v6, v10, v4
	s_waitcnt lgkmcnt(0)
	v_cmp_ne_u32_e32 vcc, s33, v6
	s_orn2_b64 s[16:17], vcc, exec
	s_branch .LBB41_23
.LBB41_30:
	s_or_b64 exec, exec, s[2:3]
.LBB41_31:
	v_mbcnt_lo_u32_b32 v1, -1, 0
	v_mbcnt_hi_u32_b32 v1, -1, v1
	v_sub_u32_e32 v1, 63, v1
	v_lshrrev_b64 v[1:2], v1, -1
	s_add_i32 s35, 0, 0x10000
	s_movk_i32 s0, 0x3ff
	s_movk_i32 s2, 0x7f
	;; [unrolled: 1-line block ×15, first 2 shown]
	v_lshl_add_u32 v3, v9, 2, s35
	v_cmp_eq_u32_e32 vcc, s0, v0
	v_cmp_lt_u32_e64 s[0:1], 63, v0
	v_cmp_lt_u32_e64 s[2:3], s2, v0
	v_cmp_lt_u32_e64 s[4:5], s4, v0
	v_cmp_lt_u32_e64 s[6:7], s6, v0
	v_cmp_lt_u32_e64 s[8:9], s8, v0
	v_cmp_lt_u32_e64 s[10:11], s10, v0
	v_cmp_lt_u32_e64 s[12:13], s12, v0
	v_cmp_lt_u32_e64 s[14:15], s14, v0
	v_cmp_lt_u32_e64 s[16:17], s16, v0
	v_cmp_lt_u32_e64 s[18:19], s18, v0
	v_cmp_lt_u32_e64 s[20:21], s20, v0
	v_cmp_lt_u32_e64 s[22:23], s22, v0
	v_cmp_lt_u32_e64 s[24:25], s24, v0
	v_cmp_lt_u32_e64 s[26:27], s26, v0
	v_cmp_lt_u32_e64 s[28:29], s28, v0
	s_mov_b64 s[40:41], 0
	v_mov_b32_e32 v4, 0
	s_add_i32 s43, 0, 0x10004
	s_add_i32 s46, 0, 0x10008
	;; [unrolled: 1-line block ×15, first 2 shown]
	s_movk_i32 s60, 0x3bff
	s_waitcnt lgkmcnt(0)
	s_barrier
	s_branch .LBB41_33
.LBB41_32:                              ;   in Loop: Header=BB41_33 Depth=1
	s_or_b64 exec, exec, s[30:31]
	v_mov_b32_e32 v5, s59
	s_waitcnt lgkmcnt(0)
	s_barrier
	ds_read_b32 v5, v5
	v_add_u32_e32 v7, 0x400, v7
	v_cmp_lt_u32_e64 s[30:31], s60, v7
	s_or_b64 s[40:41], s[30:31], s[40:41]
	v_add_u32_e32 v8, 0x1000, v8
	s_waitcnt lgkmcnt(0)
	v_add_u32_e32 v4, v5, v4
	s_andn2_b64 exec, exec, s[40:41]
	s_cbranch_execz .LBB41_67
.LBB41_33:                              ; =>This Inner Loop Header: Depth=1
	ds_read_b32 v5, v8
	s_waitcnt lgkmcnt(0)
	s_barrier
	v_cmp_gt_i32_e64 s[30:31], s33, v5
	v_and_b32_e32 v9, s30, v1
	s_bcnt1_i32_b64 s44, s[30:31]
	v_and_b32_e32 v6, s31, v2
	v_bcnt_u32_b32 v9, v9, 0
	v_bcnt_u32_b32 v6, v6, v9
	v_mov_b32_e32 v9, s44
	ds_write_b32 v3, v9
	s_waitcnt lgkmcnt(0)
	s_barrier
	s_and_saveexec_b64 s[44:45], s[0:1]
	s_cbranch_execnz .LBB41_50
; %bb.34:                               ;   in Loop: Header=BB41_33 Depth=1
	s_or_b64 exec, exec, s[44:45]
	s_and_saveexec_b64 s[44:45], s[2:3]
	s_cbranch_execnz .LBB41_51
.LBB41_35:                              ;   in Loop: Header=BB41_33 Depth=1
	s_or_b64 exec, exec, s[44:45]
	s_and_saveexec_b64 s[44:45], s[4:5]
	s_cbranch_execnz .LBB41_52
.LBB41_36:                              ;   in Loop: Header=BB41_33 Depth=1
	s_or_b64 exec, exec, s[44:45]
	s_and_saveexec_b64 s[44:45], s[6:7]
	s_cbranch_execnz .LBB41_53
.LBB41_37:                              ;   in Loop: Header=BB41_33 Depth=1
	s_or_b64 exec, exec, s[44:45]
	s_and_saveexec_b64 s[44:45], s[8:9]
	s_cbranch_execnz .LBB41_54
.LBB41_38:                              ;   in Loop: Header=BB41_33 Depth=1
	s_or_b64 exec, exec, s[44:45]
	s_and_saveexec_b64 s[44:45], s[10:11]
	s_cbranch_execnz .LBB41_55
.LBB41_39:                              ;   in Loop: Header=BB41_33 Depth=1
	s_or_b64 exec, exec, s[44:45]
	s_and_saveexec_b64 s[44:45], s[12:13]
	s_cbranch_execnz .LBB41_56
.LBB41_40:                              ;   in Loop: Header=BB41_33 Depth=1
	s_or_b64 exec, exec, s[44:45]
	s_and_saveexec_b64 s[44:45], s[14:15]
	s_cbranch_execnz .LBB41_57
.LBB41_41:                              ;   in Loop: Header=BB41_33 Depth=1
	s_or_b64 exec, exec, s[44:45]
	s_and_saveexec_b64 s[44:45], s[16:17]
	s_cbranch_execnz .LBB41_58
.LBB41_42:                              ;   in Loop: Header=BB41_33 Depth=1
	s_or_b64 exec, exec, s[44:45]
	s_and_saveexec_b64 s[44:45], s[18:19]
	s_cbranch_execnz .LBB41_59
.LBB41_43:                              ;   in Loop: Header=BB41_33 Depth=1
	s_or_b64 exec, exec, s[44:45]
	s_and_saveexec_b64 s[44:45], s[20:21]
	s_cbranch_execnz .LBB41_60
.LBB41_44:                              ;   in Loop: Header=BB41_33 Depth=1
	s_or_b64 exec, exec, s[44:45]
	s_and_saveexec_b64 s[44:45], s[22:23]
	s_cbranch_execnz .LBB41_61
.LBB41_45:                              ;   in Loop: Header=BB41_33 Depth=1
	s_or_b64 exec, exec, s[44:45]
	s_and_saveexec_b64 s[44:45], s[24:25]
	s_cbranch_execnz .LBB41_62
.LBB41_46:                              ;   in Loop: Header=BB41_33 Depth=1
	s_or_b64 exec, exec, s[44:45]
	s_and_saveexec_b64 s[44:45], s[26:27]
	s_cbranch_execnz .LBB41_63
.LBB41_47:                              ;   in Loop: Header=BB41_33 Depth=1
	s_or_b64 exec, exec, s[44:45]
	s_and_saveexec_b64 s[44:45], s[28:29]
	s_cbranch_execnz .LBB41_64
.LBB41_48:                              ;   in Loop: Header=BB41_33 Depth=1
	s_or_b64 exec, exec, s[44:45]
	s_and_saveexec_b64 s[44:45], s[30:31]
	s_cbranch_execnz .LBB41_65
.LBB41_49:                              ;   in Loop: Header=BB41_33 Depth=1
	s_or_b64 exec, exec, s[44:45]
	s_and_saveexec_b64 s[30:31], vcc
	s_cbranch_execz .LBB41_32
	s_branch .LBB41_66
.LBB41_50:                              ;   in Loop: Header=BB41_33 Depth=1
	v_mov_b32_e32 v9, s35
	ds_read_b32 v9, v9
	s_waitcnt lgkmcnt(0)
	v_add_u32_e32 v6, v9, v6
	s_or_b64 exec, exec, s[44:45]
	s_and_saveexec_b64 s[44:45], s[2:3]
	s_cbranch_execz .LBB41_35
.LBB41_51:                              ;   in Loop: Header=BB41_33 Depth=1
	v_mov_b32_e32 v9, s43
	ds_read_b32 v9, v9
	s_waitcnt lgkmcnt(0)
	v_add_u32_e32 v6, v9, v6
	s_or_b64 exec, exec, s[44:45]
	s_and_saveexec_b64 s[44:45], s[4:5]
	s_cbranch_execz .LBB41_36
.LBB41_52:                              ;   in Loop: Header=BB41_33 Depth=1
	v_mov_b32_e32 v9, s46
	ds_read_b32 v9, v9
	s_waitcnt lgkmcnt(0)
	v_add_u32_e32 v6, v9, v6
	s_or_b64 exec, exec, s[44:45]
	s_and_saveexec_b64 s[44:45], s[6:7]
	s_cbranch_execz .LBB41_37
.LBB41_53:                              ;   in Loop: Header=BB41_33 Depth=1
	v_mov_b32_e32 v9, s47
	ds_read_b32 v9, v9
	s_waitcnt lgkmcnt(0)
	v_add_u32_e32 v6, v9, v6
	s_or_b64 exec, exec, s[44:45]
	s_and_saveexec_b64 s[44:45], s[8:9]
	s_cbranch_execz .LBB41_38
.LBB41_54:                              ;   in Loop: Header=BB41_33 Depth=1
	v_mov_b32_e32 v9, s48
	ds_read_b32 v9, v9
	s_waitcnt lgkmcnt(0)
	v_add_u32_e32 v6, v9, v6
	s_or_b64 exec, exec, s[44:45]
	s_and_saveexec_b64 s[44:45], s[10:11]
	s_cbranch_execz .LBB41_39
.LBB41_55:                              ;   in Loop: Header=BB41_33 Depth=1
	v_mov_b32_e32 v9, s49
	ds_read_b32 v9, v9
	s_waitcnt lgkmcnt(0)
	v_add_u32_e32 v6, v9, v6
	s_or_b64 exec, exec, s[44:45]
	s_and_saveexec_b64 s[44:45], s[12:13]
	s_cbranch_execz .LBB41_40
.LBB41_56:                              ;   in Loop: Header=BB41_33 Depth=1
	v_mov_b32_e32 v9, s50
	ds_read_b32 v9, v9
	s_waitcnt lgkmcnt(0)
	v_add_u32_e32 v6, v9, v6
	s_or_b64 exec, exec, s[44:45]
	s_and_saveexec_b64 s[44:45], s[14:15]
	s_cbranch_execz .LBB41_41
.LBB41_57:                              ;   in Loop: Header=BB41_33 Depth=1
	v_mov_b32_e32 v9, s51
	ds_read_b32 v9, v9
	s_waitcnt lgkmcnt(0)
	v_add_u32_e32 v6, v9, v6
	s_or_b64 exec, exec, s[44:45]
	s_and_saveexec_b64 s[44:45], s[16:17]
	s_cbranch_execz .LBB41_42
.LBB41_58:                              ;   in Loop: Header=BB41_33 Depth=1
	v_mov_b32_e32 v9, s52
	ds_read_b32 v9, v9
	s_waitcnt lgkmcnt(0)
	v_add_u32_e32 v6, v9, v6
	s_or_b64 exec, exec, s[44:45]
	s_and_saveexec_b64 s[44:45], s[18:19]
	s_cbranch_execz .LBB41_43
.LBB41_59:                              ;   in Loop: Header=BB41_33 Depth=1
	v_mov_b32_e32 v9, s53
	ds_read_b32 v9, v9
	s_waitcnt lgkmcnt(0)
	v_add_u32_e32 v6, v9, v6
	s_or_b64 exec, exec, s[44:45]
	s_and_saveexec_b64 s[44:45], s[20:21]
	s_cbranch_execz .LBB41_44
.LBB41_60:                              ;   in Loop: Header=BB41_33 Depth=1
	v_mov_b32_e32 v9, s54
	ds_read_b32 v9, v9
	s_waitcnt lgkmcnt(0)
	v_add_u32_e32 v6, v9, v6
	s_or_b64 exec, exec, s[44:45]
	s_and_saveexec_b64 s[44:45], s[22:23]
	s_cbranch_execz .LBB41_45
.LBB41_61:                              ;   in Loop: Header=BB41_33 Depth=1
	v_mov_b32_e32 v9, s55
	ds_read_b32 v9, v9
	s_waitcnt lgkmcnt(0)
	v_add_u32_e32 v6, v9, v6
	s_or_b64 exec, exec, s[44:45]
	s_and_saveexec_b64 s[44:45], s[24:25]
	s_cbranch_execz .LBB41_46
.LBB41_62:                              ;   in Loop: Header=BB41_33 Depth=1
	v_mov_b32_e32 v9, s56
	ds_read_b32 v9, v9
	s_waitcnt lgkmcnt(0)
	v_add_u32_e32 v6, v9, v6
	s_or_b64 exec, exec, s[44:45]
	s_and_saveexec_b64 s[44:45], s[26:27]
	s_cbranch_execz .LBB41_47
.LBB41_63:                              ;   in Loop: Header=BB41_33 Depth=1
	v_mov_b32_e32 v9, s57
	ds_read_b32 v9, v9
	s_waitcnt lgkmcnt(0)
	v_add_u32_e32 v6, v9, v6
	s_or_b64 exec, exec, s[44:45]
	s_and_saveexec_b64 s[44:45], s[28:29]
	s_cbranch_execz .LBB41_48
.LBB41_64:                              ;   in Loop: Header=BB41_33 Depth=1
	v_mov_b32_e32 v9, s58
	ds_read_b32 v9, v9
	s_waitcnt lgkmcnt(0)
	v_add_u32_e32 v6, v9, v6
	s_or_b64 exec, exec, s[44:45]
	s_and_saveexec_b64 s[44:45], s[30:31]
	s_cbranch_execz .LBB41_49
.LBB41_65:                              ;   in Loop: Header=BB41_33 Depth=1
	v_lshlrev_b32_e32 v9, 2, v4
	v_add_u32_e32 v9, 0, v9
	v_lshlrev_b32_e32 v10, 2, v6
	v_add3_u32 v9, v9, v10, -4
	ds_write_b32 v9, v5
	s_or_b64 exec, exec, s[44:45]
	s_and_saveexec_b64 s[30:31], vcc
	s_cbranch_execz .LBB41_32
.LBB41_66:                              ;   in Loop: Header=BB41_33 Depth=1
	v_mov_b32_e32 v5, s59
	ds_write_b32 v5, v6
	s_branch .LBB41_32
.LBB41_67:
	s_or_b64 exec, exec, s[40:41]
	s_ashr_i32 s35, s34, 31
	s_lshl_b64 s[0:1], s[34:35], 3
	s_add_u32 s4, s36, s0
	s_addc_u32 s5, s37, s1
	s_load_dwordx4 s[0:3], s[4:5], 0x0
	s_waitcnt lgkmcnt(0)
	s_sub_i32 s8, s2, s0
	v_cmp_gt_i32_e32 vcc, s8, v0
	s_and_saveexec_b64 s[4:5], vcc
	s_cbranch_execz .LBB41_77
; %bb.68:
	s_sub_u32 s4, s0, s42
	s_subb_u32 s5, s1, 0
	s_and_b32 s9, s8, 7
	s_sub_i32 s0, s0, s2
	s_cmp_lt_u32 s0, -7
	s_cselect_b64 s[0:1], -1, 0
	s_and_b32 s10, s8, -8
	s_cmp_lg_u32 s9, 0
	v_cndmask_b32_e64 v1, 0, 1, s[0:1]
	s_mov_b64 s[2:3], 0
	s_cselect_b64 s[6:7], -1, 0
	v_cmp_ne_u32_e64 s[0:1], 1, v1
	s_branch .LBB41_70
.LBB41_69:                              ;   in Loop: Header=BB41_70 Depth=1
	v_lshlrev_b64 v[1:2], 2, v[1:2]
	v_mov_b32_e32 v4, s39
	v_add_co_u32_e32 v1, vcc, s38, v1
	v_addc_co_u32_e32 v2, vcc, v4, v2, vcc
	v_add_u32_e32 v0, 0x400, v0
	v_cmp_le_i32_e32 vcc, s8, v0
	s_waitcnt lgkmcnt(0)
	v_add_u32_e32 v3, s42, v3
	s_or_b64 s[2:3], vcc, s[2:3]
	global_store_dword v[1:2], v3, off
	s_andn2_b64 exec, exec, s[2:3]
	s_cbranch_execz .LBB41_77
.LBB41_70:                              ; =>This Loop Header: Depth=1
                                        ;     Child Loop BB41_72 Depth 2
                                        ;     Child Loop BB41_76 Depth 2
	v_lshl_add_u32 v1, v0, 2, 0
	ds_read_b32 v3, v1
	v_mov_b32_e32 v1, s4
	s_and_b64 vcc, exec, s[0:1]
	v_mov_b32_e32 v2, s5
	s_mov_b32 s11, 0
	s_cbranch_vccnz .LBB41_74
; %bb.71:                               ;   in Loop: Header=BB41_70 Depth=1
	v_mov_b32_e32 v1, s4
	s_mov_b32 s12, 0
	v_mov_b32_e32 v2, s5
.LBB41_72:                              ;   Parent Loop BB41_70 Depth=1
                                        ; =>  This Inner Loop Header: Depth=2
	v_mov_b32_e32 v10, s12
	ds_read2_b32 v[4:5], v10 offset1:1
	ds_read2_b32 v[6:7], v10 offset0:2 offset1:3
	ds_read2_b32 v[8:9], v10 offset0:4 offset1:5
	ds_read2_b32 v[10:11], v10 offset0:6 offset1:7
	s_add_i32 s11, s11, 8
	s_waitcnt lgkmcnt(3)
	v_cmp_gt_i32_e32 vcc, v3, v4
	v_cndmask_b32_e64 v4, 0, 1, vcc
	v_cmp_gt_i32_e32 vcc, v3, v5
	v_cndmask_b32_e64 v5, 0, 1, vcc
	s_waitcnt lgkmcnt(2)
	v_cmp_gt_i32_e32 vcc, v3, v6
	v_cndmask_b32_e64 v6, 0, 1, vcc
	v_cmp_gt_i32_e32 vcc, v3, v7
	v_cndmask_b32_e64 v7, 0, 1, vcc
	s_waitcnt lgkmcnt(1)
	v_cmp_gt_i32_e32 vcc, v3, v8
	v_cndmask_b32_e64 v8, 0, 1, vcc
	v_cmp_gt_i32_e32 vcc, v3, v9
	v_cndmask_b32_e64 v9, 0, 1, vcc
	s_waitcnt lgkmcnt(0)
	v_cmp_gt_i32_e32 vcc, v3, v10
	v_cndmask_b32_e64 v10, 0, 1, vcc
	v_cmp_gt_i32_e32 vcc, v3, v11
	v_cndmask_b32_e64 v11, 0, 1, vcc
	v_add_co_u32_e32 v1, vcc, v1, v4
	v_addc_co_u32_e32 v2, vcc, 0, v2, vcc
	v_add_co_u32_e32 v1, vcc, v1, v5
	v_addc_co_u32_e32 v2, vcc, 0, v2, vcc
	;; [unrolled: 2-line block ×7, first 2 shown]
	s_add_i32 s12, s12, 32
	v_add_co_u32_e32 v1, vcc, v1, v11
	s_cmp_eq_u32 s10, s11
	v_addc_co_u32_e32 v2, vcc, 0, v2, vcc
	s_cbranch_scc0 .LBB41_72
; %bb.73:                               ;   in Loop: Header=BB41_70 Depth=1
	s_mov_b32 s11, s10
.LBB41_74:                              ;   in Loop: Header=BB41_70 Depth=1
	s_andn2_b64 vcc, exec, s[6:7]
	s_cbranch_vccnz .LBB41_69
; %bb.75:                               ;   in Loop: Header=BB41_70 Depth=1
	s_lshl_b32 s11, s11, 2
	s_add_i32 s11, s11, 0
	s_mov_b32 s12, s9
.LBB41_76:                              ;   Parent Loop BB41_70 Depth=1
                                        ; =>  This Inner Loop Header: Depth=2
	v_mov_b32_e32 v4, s11
	ds_read_b32 v4, v4
	s_add_i32 s11, s11, 4
	s_add_i32 s12, s12, -1
	s_cmp_lg_u32 s12, 0
	s_waitcnt lgkmcnt(0)
	v_cmp_gt_i32_e32 vcc, v3, v4
	v_cndmask_b32_e64 v4, 0, 1, vcc
	v_add_co_u32_e32 v1, vcc, v1, v4
	v_addc_co_u32_e32 v2, vcc, 0, v2, vcc
	s_cbranch_scc1 .LBB41_76
	s_branch .LBB41_69
.LBB41_77:
	s_endpgm
	.section	.rodata,"a",@progbits
	.p2align	6, 0x0
	.amdhsa_kernel _ZN9rocsparseL35csrgemm_symbolic_fill_block_per_rowILj1024ELj64ELj16384ELj137ELj64EliEEvT5_PKS1_S3_PKT4_S3_S6_S3_S6_S3_S6_PS1_21rocsparse_index_base_S8_S8_S8_bb
		.amdhsa_group_segment_fixed_size 0
		.amdhsa_private_segment_fixed_size 0
		.amdhsa_kernarg_size 108
		.amdhsa_user_sgpr_count 6
		.amdhsa_user_sgpr_private_segment_buffer 1
		.amdhsa_user_sgpr_dispatch_ptr 0
		.amdhsa_user_sgpr_queue_ptr 0
		.amdhsa_user_sgpr_kernarg_segment_ptr 1
		.amdhsa_user_sgpr_dispatch_id 0
		.amdhsa_user_sgpr_flat_scratch_init 0
		.amdhsa_user_sgpr_private_segment_size 0
		.amdhsa_uses_dynamic_stack 0
		.amdhsa_system_sgpr_private_segment_wavefront_offset 0
		.amdhsa_system_sgpr_workgroup_id_x 1
		.amdhsa_system_sgpr_workgroup_id_y 0
		.amdhsa_system_sgpr_workgroup_id_z 0
		.amdhsa_system_sgpr_workgroup_info 0
		.amdhsa_system_vgpr_workitem_id 0
		.amdhsa_next_free_vgpr 18
		.amdhsa_next_free_sgpr 61
		.amdhsa_reserve_vcc 1
		.amdhsa_reserve_flat_scratch 0
		.amdhsa_float_round_mode_32 0
		.amdhsa_float_round_mode_16_64 0
		.amdhsa_float_denorm_mode_32 3
		.amdhsa_float_denorm_mode_16_64 3
		.amdhsa_dx10_clamp 1
		.amdhsa_ieee_mode 1
		.amdhsa_fp16_overflow 0
		.amdhsa_exception_fp_ieee_invalid_op 0
		.amdhsa_exception_fp_denorm_src 0
		.amdhsa_exception_fp_ieee_div_zero 0
		.amdhsa_exception_fp_ieee_overflow 0
		.amdhsa_exception_fp_ieee_underflow 0
		.amdhsa_exception_fp_ieee_inexact 0
		.amdhsa_exception_int_div_zero 0
	.end_amdhsa_kernel
	.section	.text._ZN9rocsparseL35csrgemm_symbolic_fill_block_per_rowILj1024ELj64ELj16384ELj137ELj64EliEEvT5_PKS1_S3_PKT4_S3_S6_S3_S6_S3_S6_PS1_21rocsparse_index_base_S8_S8_S8_bb,"axG",@progbits,_ZN9rocsparseL35csrgemm_symbolic_fill_block_per_rowILj1024ELj64ELj16384ELj137ELj64EliEEvT5_PKS1_S3_PKT4_S3_S6_S3_S6_S3_S6_PS1_21rocsparse_index_base_S8_S8_S8_bb,comdat
.Lfunc_end41:
	.size	_ZN9rocsparseL35csrgemm_symbolic_fill_block_per_rowILj1024ELj64ELj16384ELj137ELj64EliEEvT5_PKS1_S3_PKT4_S3_S6_S3_S6_S3_S6_PS1_21rocsparse_index_base_S8_S8_S8_bb, .Lfunc_end41-_ZN9rocsparseL35csrgemm_symbolic_fill_block_per_rowILj1024ELj64ELj16384ELj137ELj64EliEEvT5_PKS1_S3_PKT4_S3_S6_S3_S6_S3_S6_PS1_21rocsparse_index_base_S8_S8_S8_bb
                                        ; -- End function
	.set _ZN9rocsparseL35csrgemm_symbolic_fill_block_per_rowILj1024ELj64ELj16384ELj137ELj64EliEEvT5_PKS1_S3_PKT4_S3_S6_S3_S6_S3_S6_PS1_21rocsparse_index_base_S8_S8_S8_bb.num_vgpr, 18
	.set _ZN9rocsparseL35csrgemm_symbolic_fill_block_per_rowILj1024ELj64ELj16384ELj137ELj64EliEEvT5_PKS1_S3_PKT4_S3_S6_S3_S6_S3_S6_PS1_21rocsparse_index_base_S8_S8_S8_bb.num_agpr, 0
	.set _ZN9rocsparseL35csrgemm_symbolic_fill_block_per_rowILj1024ELj64ELj16384ELj137ELj64EliEEvT5_PKS1_S3_PKT4_S3_S6_S3_S6_S3_S6_PS1_21rocsparse_index_base_S8_S8_S8_bb.numbered_sgpr, 61
	.set _ZN9rocsparseL35csrgemm_symbolic_fill_block_per_rowILj1024ELj64ELj16384ELj137ELj64EliEEvT5_PKS1_S3_PKT4_S3_S6_S3_S6_S3_S6_PS1_21rocsparse_index_base_S8_S8_S8_bb.num_named_barrier, 0
	.set _ZN9rocsparseL35csrgemm_symbolic_fill_block_per_rowILj1024ELj64ELj16384ELj137ELj64EliEEvT5_PKS1_S3_PKT4_S3_S6_S3_S6_S3_S6_PS1_21rocsparse_index_base_S8_S8_S8_bb.private_seg_size, 0
	.set _ZN9rocsparseL35csrgemm_symbolic_fill_block_per_rowILj1024ELj64ELj16384ELj137ELj64EliEEvT5_PKS1_S3_PKT4_S3_S6_S3_S6_S3_S6_PS1_21rocsparse_index_base_S8_S8_S8_bb.uses_vcc, 1
	.set _ZN9rocsparseL35csrgemm_symbolic_fill_block_per_rowILj1024ELj64ELj16384ELj137ELj64EliEEvT5_PKS1_S3_PKT4_S3_S6_S3_S6_S3_S6_PS1_21rocsparse_index_base_S8_S8_S8_bb.uses_flat_scratch, 0
	.set _ZN9rocsparseL35csrgemm_symbolic_fill_block_per_rowILj1024ELj64ELj16384ELj137ELj64EliEEvT5_PKS1_S3_PKT4_S3_S6_S3_S6_S3_S6_PS1_21rocsparse_index_base_S8_S8_S8_bb.has_dyn_sized_stack, 0
	.set _ZN9rocsparseL35csrgemm_symbolic_fill_block_per_rowILj1024ELj64ELj16384ELj137ELj64EliEEvT5_PKS1_S3_PKT4_S3_S6_S3_S6_S3_S6_PS1_21rocsparse_index_base_S8_S8_S8_bb.has_recursion, 0
	.set _ZN9rocsparseL35csrgemm_symbolic_fill_block_per_rowILj1024ELj64ELj16384ELj137ELj64EliEEvT5_PKS1_S3_PKT4_S3_S6_S3_S6_S3_S6_PS1_21rocsparse_index_base_S8_S8_S8_bb.has_indirect_call, 0
	.section	.AMDGPU.csdata,"",@progbits
; Kernel info:
; codeLenInByte = 2804
; TotalNumSgprs: 65
; NumVgprs: 18
; ScratchSize: 0
; MemoryBound: 0
; FloatMode: 240
; IeeeMode: 1
; LDSByteSize: 0 bytes/workgroup (compile time only)
; SGPRBlocks: 8
; VGPRBlocks: 4
; NumSGPRsForWavesPerEU: 65
; NumVGPRsForWavesPerEU: 18
; Occupancy: 10
; WaveLimiterHint : 1
; COMPUTE_PGM_RSRC2:SCRATCH_EN: 0
; COMPUTE_PGM_RSRC2:USER_SGPR: 6
; COMPUTE_PGM_RSRC2:TRAP_HANDLER: 0
; COMPUTE_PGM_RSRC2:TGID_X_EN: 1
; COMPUTE_PGM_RSRC2:TGID_Y_EN: 0
; COMPUTE_PGM_RSRC2:TGID_Z_EN: 0
; COMPUTE_PGM_RSRC2:TIDIG_COMP_CNT: 0
	.section	.text._ZN9rocsparseL35csrgemm_symbolic_fill_block_per_rowILj1024ELj64ELj32768ELj137ELj32EliEEvT5_PKS1_S3_PKT4_S3_S6_S3_S6_S3_S6_PS1_21rocsparse_index_base_S8_S8_S8_bb,"axG",@progbits,_ZN9rocsparseL35csrgemm_symbolic_fill_block_per_rowILj1024ELj64ELj32768ELj137ELj32EliEEvT5_PKS1_S3_PKT4_S3_S6_S3_S6_S3_S6_PS1_21rocsparse_index_base_S8_S8_S8_bb,comdat
	.globl	_ZN9rocsparseL35csrgemm_symbolic_fill_block_per_rowILj1024ELj64ELj32768ELj137ELj32EliEEvT5_PKS1_S3_PKT4_S3_S6_S3_S6_S3_S6_PS1_21rocsparse_index_base_S8_S8_S8_bb ; -- Begin function _ZN9rocsparseL35csrgemm_symbolic_fill_block_per_rowILj1024ELj64ELj32768ELj137ELj32EliEEvT5_PKS1_S3_PKT4_S3_S6_S3_S6_S3_S6_PS1_21rocsparse_index_base_S8_S8_S8_bb
	.p2align	8
	.type	_ZN9rocsparseL35csrgemm_symbolic_fill_block_per_rowILj1024ELj64ELj32768ELj137ELj32EliEEvT5_PKS1_S3_PKT4_S3_S6_S3_S6_S3_S6_PS1_21rocsparse_index_base_S8_S8_S8_bb,@function
_ZN9rocsparseL35csrgemm_symbolic_fill_block_per_rowILj1024ELj64ELj32768ELj137ELj32EliEEvT5_PKS1_S3_PKT4_S3_S6_S3_S6_S3_S6_PS1_21rocsparse_index_base_S8_S8_S8_bb: ; @_ZN9rocsparseL35csrgemm_symbolic_fill_block_per_rowILj1024ELj64ELj32768ELj137ELj32EliEEvT5_PKS1_S3_PKT4_S3_S6_S3_S6_S3_S6_PS1_21rocsparse_index_base_S8_S8_S8_bb
; %bb.0:
	s_load_dwordx4 s[36:39], s[4:5], 0x48
	s_load_dwordx8 s[8:15], s[4:5], 0x28
	s_load_dword s33, s[4:5], 0x0
	s_load_dwordx8 s[16:23], s[4:5], 0x8
	v_or_b32_e32 v7, 0xfffffc00, v0
	v_lshl_add_u32 v8, v0, 2, 0
	s_mov_b64 s[0:1], 0
	s_waitcnt lgkmcnt(0)
	v_mov_b32_e32 v1, s33
	s_movk_i32 s2, 0x7bff
	v_mov_b32_e32 v2, v8
	v_mov_b32_e32 v3, v7
.LBB42_1:                               ; =>This Inner Loop Header: Depth=1
	v_add_u32_e32 v3, 0x400, v3
	v_cmp_lt_u32_e32 vcc, s2, v3
	ds_write_b32 v2, v1
	s_or_b64 s[0:1], vcc, s[0:1]
	v_add_u32_e32 v2, 0x1000, v2
	s_andn2_b64 exec, exec, s[0:1]
	s_cbranch_execnz .LBB42_1
; %bb.2:
	s_or_b64 exec, exec, s[0:1]
	s_load_dword s30, s[4:5], 0x68
	s_waitcnt lgkmcnt(0)
	s_barrier
	s_load_dword s2, s[16:17], 0x0
	s_load_dwordx4 s[64:67], s[4:5], 0x58
	s_bitcmp1_b32 s30, 0
	s_cselect_b64 s[0:1], -1, 0
	s_mov_b32 s3, 0
	s_waitcnt lgkmcnt(0)
	s_add_i32 s2, s2, s6
	s_lshl_b64 s[2:3], s[2:3], 2
	s_add_u32 s2, s18, s2
	s_addc_u32 s3, s19, s3
	s_load_dword s2, s[2:3], 0x0
                                        ; implicit-def: $vgpr17 : SGPR spill to VGPR lane
	s_and_b64 vcc, exec, s[0:1]
	s_waitcnt lgkmcnt(0)
	v_writelane_b32 v17, s2, 0
	v_writelane_b32 v17, s3, 1
	s_cbranch_vccz .LBB42_18
; %bb.3:
	v_readlane_b32 s0, v17, 0
	v_readlane_b32 s1, v17, 1
	s_mov_b32 s2, s0
	s_ashr_i32 s3, s0, 31
	v_writelane_b32 v17, s0, 0
	v_writelane_b32 v17, s1, 1
	s_lshl_b64 s[0:1], s[2:3], 3
	s_add_u32 s0, s20, s0
	s_addc_u32 s1, s21, s1
	s_load_dwordx4 s[4:7], s[0:1], 0x0
	v_lshrrev_b32_e32 v1, 6, v0
	v_subrev_co_u32_e32 v1, vcc, s64, v1
	v_subb_co_u32_e64 v2, s[2:3], 0, 0, vcc
	s_waitcnt lgkmcnt(0)
	s_sub_u32 s0, s6, s64
	v_mov_b32_e32 v3, s5
	v_add_co_u32_e32 v1, vcc, s4, v1
	s_subb_u32 s1, s7, 0
	v_addc_co_u32_e32 v2, vcc, v3, v2, vcc
	v_cmp_gt_i64_e32 vcc, s[0:1], v[1:2]
	s_and_saveexec_b64 s[2:3], vcc
	s_cbranch_execz .LBB42_17
; %bb.4:
	v_and_b32_e32 v3, 63, v0
	v_subrev_co_u32_e32 v9, vcc, s65, v3
	v_subb_co_u32_e64 v10, s[4:5], 0, 0, vcc
	s_mov_b32 s31, s65
	s_mov_b64 s[4:5], 0
	v_mov_b32_e32 v11, s23
	v_mov_b32_e32 v12, s9
	s_movk_i32 s9, 0x89
	s_branch .LBB42_6
.LBB42_5:                               ;   in Loop: Header=BB42_6 Depth=1
	s_or_b64 exec, exec, s[6:7]
	v_add_co_u32_e32 v1, vcc, 16, v1
	v_addc_co_u32_e32 v2, vcc, 0, v2, vcc
	v_cmp_le_i64_e32 vcc, s[0:1], v[1:2]
	s_or_b64 s[4:5], vcc, s[4:5]
	s_andn2_b64 exec, exec, s[4:5]
	s_cbranch_execz .LBB42_17
.LBB42_6:                               ; =>This Loop Header: Depth=1
                                        ;     Child Loop BB42_9 Depth 2
                                        ;       Child Loop BB42_12 Depth 3
	v_lshlrev_b64 v[3:4], 2, v[1:2]
	v_add_co_u32_e32 v3, vcc, s22, v3
	v_addc_co_u32_e32 v4, vcc, v11, v4, vcc
	global_load_dword v3, v[3:4], off
	s_waitcnt vmcnt(0)
	v_subrev_u32_e32 v3, s64, v3
	v_ashrrev_i32_e32 v4, 31, v3
	v_lshlrev_b64 v[3:4], 3, v[3:4]
	v_add_co_u32_e32 v3, vcc, s8, v3
	v_addc_co_u32_e32 v4, vcc, v12, v4, vcc
	global_load_dwordx4 v[13:16], v[3:4], off
	s_waitcnt vmcnt(0)
	v_subrev_co_u32_e32 v3, vcc, s31, v15
	v_subbrev_co_u32_e32 v4, vcc, 0, v16, vcc
	v_add_co_u32_e32 v5, vcc, v13, v9
	v_addc_co_u32_e32 v6, vcc, v14, v10, vcc
	v_cmp_lt_i64_e32 vcc, v[5:6], v[3:4]
	s_and_saveexec_b64 s[6:7], vcc
	s_cbranch_execz .LBB42_5
; %bb.7:                                ;   in Loop: Header=BB42_6 Depth=1
	s_mov_b64 s[16:17], 0
	s_branch .LBB42_9
.LBB42_8:                               ;   in Loop: Header=BB42_9 Depth=2
	s_or_b64 exec, exec, s[18:19]
	v_add_co_u32_e32 v5, vcc, 64, v5
	v_addc_co_u32_e32 v6, vcc, 0, v6, vcc
	v_cmp_ge_i64_e32 vcc, v[5:6], v[3:4]
	s_or_b64 s[16:17], vcc, s[16:17]
	s_andn2_b64 exec, exec, s[16:17]
	s_cbranch_execz .LBB42_5
.LBB42_9:                               ;   Parent Loop BB42_6 Depth=1
                                        ; =>  This Loop Header: Depth=2
                                        ;       Child Loop BB42_12 Depth 3
	v_lshlrev_b64 v[13:14], 2, v[5:6]
	v_mov_b32_e32 v15, s11
	v_add_co_u32_e32 v13, vcc, s10, v13
	v_addc_co_u32_e32 v14, vcc, v15, v14, vcc
	global_load_dword v13, v[13:14], off
	s_mov_b64 s[18:19], 0
                                        ; implicit-def: $sgpr20_sgpr21
	s_waitcnt vmcnt(0)
	v_subrev_u32_e32 v13, s65, v13
	v_mul_lo_u32 v14, v13, s9
	v_and_b32_e32 v14, 0x7fff, v14
	s_branch .LBB42_12
.LBB42_10:                              ;   in Loop: Header=BB42_12 Depth=3
	s_or_b64 exec, exec, s[26:27]
	s_andn2_b64 s[20:21], s[20:21], exec
	s_and_b64 s[26:27], s[28:29], exec
	s_or_b64 s[20:21], s[20:21], s[26:27]
.LBB42_11:                              ;   in Loop: Header=BB42_12 Depth=3
	s_or_b64 exec, exec, s[24:25]
	s_xor_b64 s[24:25], s[20:21], -1
	s_and_b64 s[24:25], exec, s[24:25]
	s_or_b64 s[18:19], s[24:25], s[18:19]
	s_andn2_b64 exec, exec, s[18:19]
	s_cbranch_execz .LBB42_8
.LBB42_12:                              ;   Parent Loop BB42_6 Depth=1
                                        ;     Parent Loop BB42_9 Depth=2
                                        ; =>    This Inner Loop Header: Depth=3
	v_lshl_add_u32 v15, v14, 2, 0
	ds_read_b32 v16, v15
	s_andn2_b64 s[20:21], s[20:21], exec
	s_waitcnt lgkmcnt(0)
	v_cmp_ne_u32_e32 vcc, v16, v13
	s_and_saveexec_b64 s[24:25], vcc
	s_cbranch_execz .LBB42_11
; %bb.13:                               ;   in Loop: Header=BB42_12 Depth=3
	v_cmp_ne_u32_e32 vcc, s33, v16
	s_and_saveexec_b64 s[26:27], vcc
	s_xor_b64 s[26:27], exec, s[26:27]
; %bb.14:                               ;   in Loop: Header=BB42_12 Depth=3
	v_add_u32_e32 v14, 1, v14
	v_and_b32_e32 v14, 0x7fff, v14
                                        ; implicit-def: $vgpr15
; %bb.15:                               ;   in Loop: Header=BB42_12 Depth=3
	s_or_saveexec_b64 s[26:27], s[26:27]
	s_mov_b64 s[28:29], -1
	s_xor_b64 exec, exec, s[26:27]
	s_cbranch_execz .LBB42_10
; %bb.16:                               ;   in Loop: Header=BB42_12 Depth=3
	v_mov_b32_e32 v16, s33
	ds_cmpst_rtn_b32 v15, v15, v16, v13
	s_waitcnt lgkmcnt(0)
	v_cmp_ne_u32_e32 vcc, s33, v15
	s_orn2_b64 s[28:29], vcc, exec
	s_branch .LBB42_10
.LBB42_17:
	s_or_b64 exec, exec, s[2:3]
.LBB42_18:
	s_bfe_u32 s0, s30, 0x10008
	s_cmp_eq_u32 s0, 0
	s_cbranch_scc1 .LBB42_31
; %bb.19:
	v_readlane_b32 s0, v17, 0
	v_readlane_b32 s1, v17, 1
	s_mov_b32 s2, s0
	s_ashr_i32 s3, s0, 31
	v_writelane_b32 v17, s0, 0
	v_writelane_b32 v17, s1, 1
	s_lshl_b64 s[0:1], s[2:3], 3
	s_add_u32 s0, s12, s0
	s_addc_u32 s1, s13, s1
	s_load_dwordx4 s[4:7], s[0:1], 0x0
	v_subrev_co_u32_e32 v1, vcc, s67, v0
	v_subb_co_u32_e64 v2, s[0:1], 0, 0, vcc
	s_waitcnt lgkmcnt(0)
	s_sub_u32 s0, s6, s67
	v_mov_b32_e32 v3, s5
	v_add_co_u32_e32 v1, vcc, s4, v1
	s_subb_u32 s1, s7, 0
	v_addc_co_u32_e32 v2, vcc, v3, v2, vcc
	v_cmp_gt_i64_e32 vcc, s[0:1], v[1:2]
	s_and_saveexec_b64 s[2:3], vcc
	s_cbranch_execz .LBB42_30
; %bb.20:
	s_mov_b64 s[4:5], 0
	v_mov_b32_e32 v3, s15
	s_movk_i32 s15, 0x89
	s_branch .LBB42_22
.LBB42_21:                              ;   in Loop: Header=BB42_22 Depth=1
	s_or_b64 exec, exec, s[6:7]
	v_add_co_u32_e32 v1, vcc, 0x400, v1
	v_addc_co_u32_e32 v2, vcc, 0, v2, vcc
	v_cmp_le_i64_e32 vcc, s[0:1], v[1:2]
	s_or_b64 s[4:5], vcc, s[4:5]
	s_andn2_b64 exec, exec, s[4:5]
	s_cbranch_execz .LBB42_30
.LBB42_22:                              ; =>This Loop Header: Depth=1
                                        ;     Child Loop BB42_25 Depth 2
	v_lshlrev_b64 v[4:5], 2, v[1:2]
	s_mov_b64 s[6:7], 0
	v_add_co_u32_e32 v4, vcc, s14, v4
	v_addc_co_u32_e32 v5, vcc, v3, v5, vcc
	global_load_dword v4, v[4:5], off
                                        ; implicit-def: $sgpr8_sgpr9
	s_waitcnt vmcnt(0)
	v_subrev_u32_e32 v4, s67, v4
	v_mul_lo_u32 v5, v4, s15
	v_and_b32_e32 v5, 0x7fff, v5
	s_branch .LBB42_25
.LBB42_23:                              ;   in Loop: Header=BB42_25 Depth=2
	s_or_b64 exec, exec, s[12:13]
	s_andn2_b64 s[8:9], s[8:9], exec
	s_and_b64 s[12:13], s[16:17], exec
	s_or_b64 s[8:9], s[8:9], s[12:13]
.LBB42_24:                              ;   in Loop: Header=BB42_25 Depth=2
	s_or_b64 exec, exec, s[10:11]
	s_xor_b64 s[10:11], s[8:9], -1
	s_and_b64 s[10:11], exec, s[10:11]
	s_or_b64 s[6:7], s[10:11], s[6:7]
	s_andn2_b64 exec, exec, s[6:7]
	s_cbranch_execz .LBB42_21
.LBB42_25:                              ;   Parent Loop BB42_22 Depth=1
                                        ; =>  This Inner Loop Header: Depth=2
	v_lshl_add_u32 v6, v5, 2, 0
	ds_read_b32 v9, v6
	s_andn2_b64 s[8:9], s[8:9], exec
	s_waitcnt lgkmcnt(0)
	v_cmp_ne_u32_e32 vcc, v9, v4
	s_and_saveexec_b64 s[10:11], vcc
	s_cbranch_execz .LBB42_24
; %bb.26:                               ;   in Loop: Header=BB42_25 Depth=2
	v_cmp_ne_u32_e32 vcc, s33, v9
	s_and_saveexec_b64 s[12:13], vcc
	s_xor_b64 s[12:13], exec, s[12:13]
; %bb.27:                               ;   in Loop: Header=BB42_25 Depth=2
	v_add_u32_e32 v5, 1, v5
	v_and_b32_e32 v5, 0x7fff, v5
                                        ; implicit-def: $vgpr6
; %bb.28:                               ;   in Loop: Header=BB42_25 Depth=2
	s_or_saveexec_b64 s[12:13], s[12:13]
	s_mov_b64 s[16:17], -1
	s_xor_b64 exec, exec, s[12:13]
	s_cbranch_execz .LBB42_23
; %bb.29:                               ;   in Loop: Header=BB42_25 Depth=2
	v_mov_b32_e32 v9, s33
	ds_cmpst_rtn_b32 v6, v6, v9, v4
	s_waitcnt lgkmcnt(0)
	v_cmp_ne_u32_e32 vcc, s33, v6
	s_orn2_b64 s[16:17], vcc, exec
	s_branch .LBB42_23
.LBB42_30:
	s_or_b64 exec, exec, s[2:3]
.LBB42_31:
	v_writelane_b32 v17, s36, 2
	v_writelane_b32 v17, s37, 3
	;; [unrolled: 1-line block ×4, first 2 shown]
	s_add_i32 s0, 0, 0x20000
	v_writelane_b32 v17, s0, 6
	s_add_i32 s60, 0, 0x20004
	v_writelane_b32 v17, s60, 7
	;; [unrolled: 2-line block ×4, first 2 shown]
	s_add_i32 s60, 0, 0x20010
	v_mbcnt_lo_u32_b32 v1, -1, 0
	v_lshrrev_b32_e32 v3, 3, v0
	v_writelane_b32 v17, s60, 10
	s_add_i32 s60, 0, 0x20014
	v_mbcnt_hi_u32_b32 v1, -1, v1
	v_and_b32_e32 v3, 0x7c, v3
	v_writelane_b32 v17, s60, 11
	s_add_i32 s60, 0, 0x20018
	v_sub_u32_e32 v1, 63, v1
	v_add_u32_e32 v3, s0, v3
	s_movk_i32 s0, 0x3ff
	v_writelane_b32 v17, s60, 12
	s_add_i32 s60, 0, 0x2001c
	v_lshrrev_b64 v[1:2], v1, -1
	v_cmp_eq_u32_e32 vcc, s0, v0
	s_movk_i32 s0, 0x5f
	s_movk_i32 s2, 0x7f
	;; [unrolled: 1-line block ×29, first 2 shown]
	v_writelane_b32 v17, s60, 13
	s_add_i32 s60, 0, 0x20024
	v_cmp_lt_u32_e64 s[0:1], s0, v0
	v_cmp_lt_u32_e64 s[2:3], s2, v0
	v_cmp_lt_u32_e64 s[4:5], s4, v0
	v_cmp_lt_u32_e64 s[6:7], s6, v0
	v_cmp_lt_u32_e64 s[8:9], s8, v0
	v_cmp_lt_u32_e64 s[10:11], s10, v0
	v_cmp_lt_u32_e64 s[12:13], s12, v0
	v_cmp_lt_u32_e64 s[14:15], s14, v0
	v_cmp_lt_u32_e64 s[16:17], s16, v0
	v_cmp_lt_u32_e64 s[18:19], s18, v0
	v_cmp_lt_u32_e64 s[20:21], s20, v0
	v_cmp_lt_u32_e64 s[22:23], s22, v0
	v_cmp_lt_u32_e64 s[24:25], s24, v0
	v_cmp_lt_u32_e64 s[26:27], s26, v0
	v_cmp_lt_u32_e64 s[28:29], s28, v0
	v_cmp_lt_u32_e64 s[30:31], s30, v0
	v_cmp_lt_u32_e64 s[34:35], s34, v0
	v_cmp_lt_u32_e64 s[36:37], s36, v0
	v_cmp_lt_u32_e64 s[38:39], s38, v0
	v_cmp_lt_u32_e64 s[40:41], s40, v0
	v_cmp_lt_u32_e64 s[42:43], s42, v0
	v_cmp_lt_u32_e64 s[44:45], s44, v0
	v_cmp_lt_u32_e64 s[46:47], s46, v0
	v_cmp_lt_u32_e64 s[48:49], s48, v0
	v_cmp_lt_u32_e64 s[50:51], s50, v0
	v_cmp_lt_u32_e64 s[52:53], s52, v0
	v_cmp_lt_u32_e64 s[54:55], s54, v0
	v_cmp_lt_u32_e64 s[56:57], s56, v0
	v_mov_b32_e32 v4, 0
	v_cmp_lt_u32_e64 s[58:59], s58, v0
	s_add_i32 s83, 0, 0x20020
	v_writelane_b32 v17, s60, 14
	s_add_i32 s86, 0, 0x20028
	s_add_i32 s87, 0, 0x2002c
	;; [unrolled: 1-line block ×22, first 2 shown]
	v_cmp_lt_u32_e64 s[60:61], 31, v0
	v_cmp_lt_u32_e64 s[62:63], 63, v0
	s_mov_b64 s[74:75], 0
	s_barrier
	s_branch .LBB42_33
.LBB42_32:                              ;   in Loop: Header=BB42_33 Depth=1
	s_or_b64 exec, exec, s[64:65]
	v_mov_b32_e32 v5, s82
	s_waitcnt lgkmcnt(0)
	s_barrier
	ds_read_b32 v5, v5
	v_add_u32_e32 v7, 0x400, v7
	s_movk_i32 s64, 0x7bff
	v_cmp_lt_u32_e64 s[64:65], s64, v7
	s_or_b64 s[74:75], s[64:65], s[74:75]
	s_waitcnt lgkmcnt(0)
	v_add_u32_e32 v4, v5, v4
	v_add_u32_e32 v8, 0x1000, v8
	s_andn2_b64 exec, exec, s[74:75]
	s_cbranch_execz .LBB42_99
.LBB42_33:                              ; =>This Inner Loop Header: Depth=1
	ds_read_b32 v5, v8
	s_waitcnt lgkmcnt(0)
	s_barrier
	v_cmp_gt_i32_e64 s[64:65], s33, v5
	v_and_b32_e32 v9, s64, v1
	s_bcnt1_i32_b64 s76, s[64:65]
	v_and_b32_e32 v6, s65, v2
	v_bcnt_u32_b32 v9, v9, 0
	v_bcnt_u32_b32 v6, v6, v9
	v_mov_b32_e32 v9, s76
	ds_write_b32 v3, v9
	s_waitcnt lgkmcnt(0)
	s_barrier
	s_and_saveexec_b64 s[76:77], s[60:61]
	s_cbranch_execnz .LBB42_66
; %bb.34:                               ;   in Loop: Header=BB42_33 Depth=1
	s_or_b64 exec, exec, s[76:77]
	s_and_saveexec_b64 s[76:77], s[62:63]
	s_cbranch_execnz .LBB42_67
.LBB42_35:                              ;   in Loop: Header=BB42_33 Depth=1
	s_or_b64 exec, exec, s[76:77]
	s_and_saveexec_b64 s[76:77], s[0:1]
	s_cbranch_execnz .LBB42_68
.LBB42_36:                              ;   in Loop: Header=BB42_33 Depth=1
	s_or_b64 exec, exec, s[76:77]
	s_and_saveexec_b64 s[76:77], s[2:3]
	s_cbranch_execnz .LBB42_69
.LBB42_37:                              ;   in Loop: Header=BB42_33 Depth=1
	s_or_b64 exec, exec, s[76:77]
	s_and_saveexec_b64 s[76:77], s[4:5]
	s_cbranch_execnz .LBB42_70
.LBB42_38:                              ;   in Loop: Header=BB42_33 Depth=1
	s_or_b64 exec, exec, s[76:77]
	s_and_saveexec_b64 s[76:77], s[6:7]
	s_cbranch_execnz .LBB42_71
.LBB42_39:                              ;   in Loop: Header=BB42_33 Depth=1
	s_or_b64 exec, exec, s[76:77]
	s_and_saveexec_b64 s[76:77], s[8:9]
	s_cbranch_execnz .LBB42_72
.LBB42_40:                              ;   in Loop: Header=BB42_33 Depth=1
	s_or_b64 exec, exec, s[76:77]
	s_and_saveexec_b64 s[76:77], s[10:11]
	s_cbranch_execnz .LBB42_73
.LBB42_41:                              ;   in Loop: Header=BB42_33 Depth=1
	s_or_b64 exec, exec, s[76:77]
	s_and_saveexec_b64 s[76:77], s[12:13]
	s_cbranch_execnz .LBB42_74
.LBB42_42:                              ;   in Loop: Header=BB42_33 Depth=1
	s_or_b64 exec, exec, s[76:77]
	s_and_saveexec_b64 s[76:77], s[14:15]
	s_cbranch_execnz .LBB42_75
.LBB42_43:                              ;   in Loop: Header=BB42_33 Depth=1
	s_or_b64 exec, exec, s[76:77]
	s_and_saveexec_b64 s[76:77], s[16:17]
	s_cbranch_execnz .LBB42_76
.LBB42_44:                              ;   in Loop: Header=BB42_33 Depth=1
	s_or_b64 exec, exec, s[76:77]
	s_and_saveexec_b64 s[76:77], s[18:19]
	s_cbranch_execnz .LBB42_77
.LBB42_45:                              ;   in Loop: Header=BB42_33 Depth=1
	s_or_b64 exec, exec, s[76:77]
	s_and_saveexec_b64 s[76:77], s[20:21]
	s_cbranch_execnz .LBB42_78
.LBB42_46:                              ;   in Loop: Header=BB42_33 Depth=1
	s_or_b64 exec, exec, s[76:77]
	s_and_saveexec_b64 s[76:77], s[22:23]
	s_cbranch_execnz .LBB42_79
.LBB42_47:                              ;   in Loop: Header=BB42_33 Depth=1
	s_or_b64 exec, exec, s[76:77]
	s_and_saveexec_b64 s[76:77], s[24:25]
	s_cbranch_execnz .LBB42_80
.LBB42_48:                              ;   in Loop: Header=BB42_33 Depth=1
	s_or_b64 exec, exec, s[76:77]
	s_and_saveexec_b64 s[76:77], s[26:27]
	s_cbranch_execnz .LBB42_81
.LBB42_49:                              ;   in Loop: Header=BB42_33 Depth=1
	s_or_b64 exec, exec, s[76:77]
	s_and_saveexec_b64 s[76:77], s[28:29]
	s_cbranch_execnz .LBB42_82
.LBB42_50:                              ;   in Loop: Header=BB42_33 Depth=1
	s_or_b64 exec, exec, s[76:77]
	s_and_saveexec_b64 s[76:77], s[30:31]
	s_cbranch_execnz .LBB42_83
.LBB42_51:                              ;   in Loop: Header=BB42_33 Depth=1
	s_or_b64 exec, exec, s[76:77]
	s_and_saveexec_b64 s[76:77], s[34:35]
	s_cbranch_execnz .LBB42_84
.LBB42_52:                              ;   in Loop: Header=BB42_33 Depth=1
	s_or_b64 exec, exec, s[76:77]
	s_and_saveexec_b64 s[76:77], s[36:37]
	s_cbranch_execnz .LBB42_85
.LBB42_53:                              ;   in Loop: Header=BB42_33 Depth=1
	s_or_b64 exec, exec, s[76:77]
	s_and_saveexec_b64 s[76:77], s[38:39]
	s_cbranch_execnz .LBB42_86
.LBB42_54:                              ;   in Loop: Header=BB42_33 Depth=1
	s_or_b64 exec, exec, s[76:77]
	s_and_saveexec_b64 s[76:77], s[40:41]
	s_cbranch_execnz .LBB42_87
.LBB42_55:                              ;   in Loop: Header=BB42_33 Depth=1
	s_or_b64 exec, exec, s[76:77]
	s_and_saveexec_b64 s[76:77], s[42:43]
	s_cbranch_execnz .LBB42_88
.LBB42_56:                              ;   in Loop: Header=BB42_33 Depth=1
	s_or_b64 exec, exec, s[76:77]
	s_and_saveexec_b64 s[76:77], s[44:45]
	s_cbranch_execnz .LBB42_89
.LBB42_57:                              ;   in Loop: Header=BB42_33 Depth=1
	s_or_b64 exec, exec, s[76:77]
	s_and_saveexec_b64 s[76:77], s[46:47]
	s_cbranch_execnz .LBB42_90
.LBB42_58:                              ;   in Loop: Header=BB42_33 Depth=1
	s_or_b64 exec, exec, s[76:77]
	s_and_saveexec_b64 s[76:77], s[48:49]
	s_cbranch_execnz .LBB42_91
.LBB42_59:                              ;   in Loop: Header=BB42_33 Depth=1
	s_or_b64 exec, exec, s[76:77]
	s_and_saveexec_b64 s[76:77], s[50:51]
	s_cbranch_execnz .LBB42_92
.LBB42_60:                              ;   in Loop: Header=BB42_33 Depth=1
	s_or_b64 exec, exec, s[76:77]
	s_and_saveexec_b64 s[76:77], s[52:53]
	s_cbranch_execnz .LBB42_93
.LBB42_61:                              ;   in Loop: Header=BB42_33 Depth=1
	s_or_b64 exec, exec, s[76:77]
	s_and_saveexec_b64 s[76:77], s[54:55]
	s_cbranch_execnz .LBB42_94
.LBB42_62:                              ;   in Loop: Header=BB42_33 Depth=1
	s_or_b64 exec, exec, s[76:77]
	s_and_saveexec_b64 s[76:77], s[56:57]
	s_cbranch_execnz .LBB42_95
.LBB42_63:                              ;   in Loop: Header=BB42_33 Depth=1
	s_or_b64 exec, exec, s[76:77]
	s_and_saveexec_b64 s[76:77], s[58:59]
	s_cbranch_execnz .LBB42_96
.LBB42_64:                              ;   in Loop: Header=BB42_33 Depth=1
	s_or_b64 exec, exec, s[76:77]
	s_and_saveexec_b64 s[76:77], s[64:65]
	s_cbranch_execnz .LBB42_97
.LBB42_65:                              ;   in Loop: Header=BB42_33 Depth=1
	s_or_b64 exec, exec, s[76:77]
	s_and_saveexec_b64 s[64:65], vcc
	s_cbranch_execz .LBB42_32
	s_branch .LBB42_98
.LBB42_66:                              ;   in Loop: Header=BB42_33 Depth=1
	v_readlane_b32 s84, v17, 6
	v_mov_b32_e32 v9, s84
	ds_read_b32 v9, v9
	s_waitcnt lgkmcnt(0)
	v_add_u32_e32 v6, v9, v6
	s_or_b64 exec, exec, s[76:77]
	s_and_saveexec_b64 s[76:77], s[62:63]
	s_cbranch_execz .LBB42_35
.LBB42_67:                              ;   in Loop: Header=BB42_33 Depth=1
	v_readlane_b32 s84, v17, 7
	v_mov_b32_e32 v9, s84
	ds_read_b32 v9, v9
	s_waitcnt lgkmcnt(0)
	v_add_u32_e32 v6, v9, v6
	s_or_b64 exec, exec, s[76:77]
	s_and_saveexec_b64 s[76:77], s[0:1]
	s_cbranch_execz .LBB42_36
.LBB42_68:                              ;   in Loop: Header=BB42_33 Depth=1
	v_readlane_b32 s84, v17, 8
	v_mov_b32_e32 v9, s84
	ds_read_b32 v9, v9
	s_waitcnt lgkmcnt(0)
	v_add_u32_e32 v6, v9, v6
	s_or_b64 exec, exec, s[76:77]
	s_and_saveexec_b64 s[76:77], s[2:3]
	s_cbranch_execz .LBB42_37
.LBB42_69:                              ;   in Loop: Header=BB42_33 Depth=1
	v_readlane_b32 s84, v17, 9
	v_mov_b32_e32 v9, s84
	ds_read_b32 v9, v9
	s_waitcnt lgkmcnt(0)
	v_add_u32_e32 v6, v9, v6
	s_or_b64 exec, exec, s[76:77]
	s_and_saveexec_b64 s[76:77], s[4:5]
	s_cbranch_execz .LBB42_38
.LBB42_70:                              ;   in Loop: Header=BB42_33 Depth=1
	v_readlane_b32 s84, v17, 10
	v_mov_b32_e32 v9, s84
	ds_read_b32 v9, v9
	s_waitcnt lgkmcnt(0)
	v_add_u32_e32 v6, v9, v6
	s_or_b64 exec, exec, s[76:77]
	s_and_saveexec_b64 s[76:77], s[6:7]
	s_cbranch_execz .LBB42_39
.LBB42_71:                              ;   in Loop: Header=BB42_33 Depth=1
	v_readlane_b32 s84, v17, 11
	v_mov_b32_e32 v9, s84
	ds_read_b32 v9, v9
	s_waitcnt lgkmcnt(0)
	v_add_u32_e32 v6, v9, v6
	s_or_b64 exec, exec, s[76:77]
	s_and_saveexec_b64 s[76:77], s[8:9]
	s_cbranch_execz .LBB42_40
.LBB42_72:                              ;   in Loop: Header=BB42_33 Depth=1
	v_readlane_b32 s84, v17, 12
	v_mov_b32_e32 v9, s84
	ds_read_b32 v9, v9
	s_waitcnt lgkmcnt(0)
	v_add_u32_e32 v6, v9, v6
	s_or_b64 exec, exec, s[76:77]
	s_and_saveexec_b64 s[76:77], s[10:11]
	s_cbranch_execz .LBB42_41
.LBB42_73:                              ;   in Loop: Header=BB42_33 Depth=1
	v_readlane_b32 s84, v17, 13
	v_mov_b32_e32 v9, s84
	ds_read_b32 v9, v9
	s_waitcnt lgkmcnt(0)
	v_add_u32_e32 v6, v9, v6
	s_or_b64 exec, exec, s[76:77]
	s_and_saveexec_b64 s[76:77], s[12:13]
	s_cbranch_execz .LBB42_42
.LBB42_74:                              ;   in Loop: Header=BB42_33 Depth=1
	v_mov_b32_e32 v9, s83
	ds_read_b32 v9, v9
	s_waitcnt lgkmcnt(0)
	v_add_u32_e32 v6, v9, v6
	s_or_b64 exec, exec, s[76:77]
	s_and_saveexec_b64 s[76:77], s[14:15]
	s_cbranch_execz .LBB42_43
.LBB42_75:                              ;   in Loop: Header=BB42_33 Depth=1
	v_readlane_b32 s84, v17, 14
	v_mov_b32_e32 v9, s84
	ds_read_b32 v9, v9
	s_waitcnt lgkmcnt(0)
	v_add_u32_e32 v6, v9, v6
	s_or_b64 exec, exec, s[76:77]
	s_and_saveexec_b64 s[76:77], s[16:17]
	s_cbranch_execz .LBB42_44
.LBB42_76:                              ;   in Loop: Header=BB42_33 Depth=1
	v_mov_b32_e32 v9, s86
	ds_read_b32 v9, v9
	s_waitcnt lgkmcnt(0)
	v_add_u32_e32 v6, v9, v6
	s_or_b64 exec, exec, s[76:77]
	s_and_saveexec_b64 s[76:77], s[18:19]
	s_cbranch_execz .LBB42_45
.LBB42_77:                              ;   in Loop: Header=BB42_33 Depth=1
	v_mov_b32_e32 v9, s87
	ds_read_b32 v9, v9
	s_waitcnt lgkmcnt(0)
	v_add_u32_e32 v6, v9, v6
	s_or_b64 exec, exec, s[76:77]
	s_and_saveexec_b64 s[76:77], s[20:21]
	s_cbranch_execz .LBB42_46
.LBB42_78:                              ;   in Loop: Header=BB42_33 Depth=1
	v_mov_b32_e32 v9, s88
	ds_read_b32 v9, v9
	s_waitcnt lgkmcnt(0)
	v_add_u32_e32 v6, v9, v6
	s_or_b64 exec, exec, s[76:77]
	s_and_saveexec_b64 s[76:77], s[22:23]
	s_cbranch_execz .LBB42_47
.LBB42_79:                              ;   in Loop: Header=BB42_33 Depth=1
	v_mov_b32_e32 v9, s89
	ds_read_b32 v9, v9
	s_waitcnt lgkmcnt(0)
	v_add_u32_e32 v6, v9, v6
	s_or_b64 exec, exec, s[76:77]
	s_and_saveexec_b64 s[76:77], s[24:25]
	s_cbranch_execz .LBB42_48
.LBB42_80:                              ;   in Loop: Header=BB42_33 Depth=1
	v_mov_b32_e32 v9, s90
	ds_read_b32 v9, v9
	s_waitcnt lgkmcnt(0)
	v_add_u32_e32 v6, v9, v6
	s_or_b64 exec, exec, s[76:77]
	s_and_saveexec_b64 s[76:77], s[26:27]
	s_cbranch_execz .LBB42_49
.LBB42_81:                              ;   in Loop: Header=BB42_33 Depth=1
	v_mov_b32_e32 v9, s91
	ds_read_b32 v9, v9
	s_waitcnt lgkmcnt(0)
	v_add_u32_e32 v6, v9, v6
	s_or_b64 exec, exec, s[76:77]
	s_and_saveexec_b64 s[76:77], s[28:29]
	s_cbranch_execz .LBB42_50
.LBB42_82:                              ;   in Loop: Header=BB42_33 Depth=1
	v_mov_b32_e32 v9, s92
	ds_read_b32 v9, v9
	s_waitcnt lgkmcnt(0)
	v_add_u32_e32 v6, v9, v6
	s_or_b64 exec, exec, s[76:77]
	s_and_saveexec_b64 s[76:77], s[30:31]
	s_cbranch_execz .LBB42_51
.LBB42_83:                              ;   in Loop: Header=BB42_33 Depth=1
	v_mov_b32_e32 v9, s93
	ds_read_b32 v9, v9
	s_waitcnt lgkmcnt(0)
	v_add_u32_e32 v6, v9, v6
	s_or_b64 exec, exec, s[76:77]
	s_and_saveexec_b64 s[76:77], s[34:35]
	s_cbranch_execz .LBB42_52
.LBB42_84:                              ;   in Loop: Header=BB42_33 Depth=1
	v_mov_b32_e32 v9, s94
	ds_read_b32 v9, v9
	s_waitcnt lgkmcnt(0)
	v_add_u32_e32 v6, v9, v6
	s_or_b64 exec, exec, s[76:77]
	s_and_saveexec_b64 s[76:77], s[36:37]
	s_cbranch_execz .LBB42_53
.LBB42_85:                              ;   in Loop: Header=BB42_33 Depth=1
	v_mov_b32_e32 v9, s95
	ds_read_b32 v9, v9
	s_waitcnt lgkmcnt(0)
	v_add_u32_e32 v6, v9, v6
	s_or_b64 exec, exec, s[76:77]
	s_and_saveexec_b64 s[76:77], s[38:39]
	s_cbranch_execz .LBB42_54
.LBB42_86:                              ;   in Loop: Header=BB42_33 Depth=1
	v_mov_b32_e32 v9, s72
	ds_read_b32 v9, v9
	s_waitcnt lgkmcnt(0)
	v_add_u32_e32 v6, v9, v6
	s_or_b64 exec, exec, s[76:77]
	s_and_saveexec_b64 s[76:77], s[40:41]
	s_cbranch_execz .LBB42_55
.LBB42_87:                              ;   in Loop: Header=BB42_33 Depth=1
	v_mov_b32_e32 v9, s68
	ds_read_b32 v9, v9
	s_waitcnt lgkmcnt(0)
	v_add_u32_e32 v6, v9, v6
	s_or_b64 exec, exec, s[76:77]
	s_and_saveexec_b64 s[76:77], s[42:43]
	s_cbranch_execz .LBB42_56
.LBB42_88:                              ;   in Loop: Header=BB42_33 Depth=1
	v_mov_b32_e32 v9, s69
	ds_read_b32 v9, v9
	s_waitcnt lgkmcnt(0)
	v_add_u32_e32 v6, v9, v6
	s_or_b64 exec, exec, s[76:77]
	s_and_saveexec_b64 s[76:77], s[44:45]
	s_cbranch_execz .LBB42_57
.LBB42_89:                              ;   in Loop: Header=BB42_33 Depth=1
	v_mov_b32_e32 v9, s70
	ds_read_b32 v9, v9
	s_waitcnt lgkmcnt(0)
	v_add_u32_e32 v6, v9, v6
	s_or_b64 exec, exec, s[76:77]
	s_and_saveexec_b64 s[76:77], s[46:47]
	s_cbranch_execz .LBB42_58
.LBB42_90:                              ;   in Loop: Header=BB42_33 Depth=1
	v_mov_b32_e32 v9, s71
	ds_read_b32 v9, v9
	s_waitcnt lgkmcnt(0)
	v_add_u32_e32 v6, v9, v6
	s_or_b64 exec, exec, s[76:77]
	s_and_saveexec_b64 s[76:77], s[48:49]
	s_cbranch_execz .LBB42_59
.LBB42_91:                              ;   in Loop: Header=BB42_33 Depth=1
	v_mov_b32_e32 v9, s67
	ds_read_b32 v9, v9
	s_waitcnt lgkmcnt(0)
	v_add_u32_e32 v6, v9, v6
	s_or_b64 exec, exec, s[76:77]
	s_and_saveexec_b64 s[76:77], s[50:51]
	s_cbranch_execz .LBB42_60
.LBB42_92:                              ;   in Loop: Header=BB42_33 Depth=1
	v_mov_b32_e32 v9, s73
	ds_read_b32 v9, v9
	s_waitcnt lgkmcnt(0)
	v_add_u32_e32 v6, v9, v6
	s_or_b64 exec, exec, s[76:77]
	s_and_saveexec_b64 s[76:77], s[52:53]
	s_cbranch_execz .LBB42_61
.LBB42_93:                              ;   in Loop: Header=BB42_33 Depth=1
	v_mov_b32_e32 v9, s78
	ds_read_b32 v9, v9
	s_waitcnt lgkmcnt(0)
	v_add_u32_e32 v6, v9, v6
	s_or_b64 exec, exec, s[76:77]
	s_and_saveexec_b64 s[76:77], s[54:55]
	s_cbranch_execz .LBB42_62
.LBB42_94:                              ;   in Loop: Header=BB42_33 Depth=1
	v_mov_b32_e32 v9, s79
	ds_read_b32 v9, v9
	s_waitcnt lgkmcnt(0)
	v_add_u32_e32 v6, v9, v6
	s_or_b64 exec, exec, s[76:77]
	s_and_saveexec_b64 s[76:77], s[56:57]
	s_cbranch_execz .LBB42_63
.LBB42_95:                              ;   in Loop: Header=BB42_33 Depth=1
	v_mov_b32_e32 v9, s80
	ds_read_b32 v9, v9
	s_waitcnt lgkmcnt(0)
	v_add_u32_e32 v6, v9, v6
	s_or_b64 exec, exec, s[76:77]
	s_and_saveexec_b64 s[76:77], s[58:59]
	s_cbranch_execz .LBB42_64
.LBB42_96:                              ;   in Loop: Header=BB42_33 Depth=1
	v_mov_b32_e32 v9, s81
	ds_read_b32 v9, v9
	s_waitcnt lgkmcnt(0)
	v_add_u32_e32 v6, v9, v6
	s_or_b64 exec, exec, s[76:77]
	s_and_saveexec_b64 s[76:77], s[64:65]
	s_cbranch_execz .LBB42_65
.LBB42_97:                              ;   in Loop: Header=BB42_33 Depth=1
	v_lshlrev_b32_e32 v9, 2, v4
	v_add_u32_e32 v9, 0, v9
	v_lshlrev_b32_e32 v10, 2, v6
	v_add3_u32 v9, v9, v10, -4
	ds_write_b32 v9, v5
	s_or_b64 exec, exec, s[76:77]
	s_and_saveexec_b64 s[64:65], vcc
	s_cbranch_execz .LBB42_32
.LBB42_98:                              ;   in Loop: Header=BB42_33 Depth=1
	v_mov_b32_e32 v5, s82
	ds_write_b32 v5, v6
	s_branch .LBB42_32
.LBB42_99:
	s_or_b64 exec, exec, s[74:75]
	v_readlane_b32 s0, v17, 0
	v_readlane_b32 s1, v17, 1
	s_ashr_i32 s1, s0, 31
	s_lshl_b64 s[0:1], s[0:1], 3
	v_readlane_b32 s12, v17, 2
	v_readlane_b32 s13, v17, 3
	s_add_u32 s4, s12, s0
	s_addc_u32 s5, s13, s1
	s_load_dwordx4 s[0:3], s[4:5], 0x0
	v_readlane_b32 s14, v17, 4
	v_readlane_b32 s15, v17, 5
	s_waitcnt lgkmcnt(0)
	s_sub_i32 s8, s2, s0
	v_cmp_gt_i32_e32 vcc, s8, v0
	s_and_saveexec_b64 s[4:5], vcc
	s_cbranch_execz .LBB42_109
; %bb.100:
	s_sub_u32 s4, s0, s66
	s_subb_u32 s5, s1, 0
	s_and_b32 s9, s8, 7
	s_sub_i32 s0, s0, s2
	s_cmp_lt_u32 s0, -7
	s_cselect_b64 s[0:1], -1, 0
	s_and_b32 s10, s8, -8
	s_cmp_lg_u32 s9, 0
	v_cndmask_b32_e64 v1, 0, 1, s[0:1]
	s_mov_b64 s[2:3], 0
	s_cselect_b64 s[6:7], -1, 0
	v_cmp_ne_u32_e64 s[0:1], 1, v1
	s_branch .LBB42_102
.LBB42_101:                             ;   in Loop: Header=BB42_102 Depth=1
	v_lshlrev_b64 v[1:2], 2, v[1:2]
	v_mov_b32_e32 v4, s15
	v_add_co_u32_e32 v1, vcc, s14, v1
	v_addc_co_u32_e32 v2, vcc, v4, v2, vcc
	v_add_u32_e32 v0, 0x400, v0
	v_cmp_le_i32_e32 vcc, s8, v0
	s_waitcnt lgkmcnt(0)
	v_add_u32_e32 v3, s66, v3
	s_or_b64 s[2:3], vcc, s[2:3]
	global_store_dword v[1:2], v3, off
	s_andn2_b64 exec, exec, s[2:3]
	s_cbranch_execz .LBB42_109
.LBB42_102:                             ; =>This Loop Header: Depth=1
                                        ;     Child Loop BB42_104 Depth 2
                                        ;     Child Loop BB42_108 Depth 2
	v_lshl_add_u32 v1, v0, 2, 0
	ds_read_b32 v3, v1
	v_mov_b32_e32 v1, s4
	s_and_b64 vcc, exec, s[0:1]
	v_mov_b32_e32 v2, s5
	s_mov_b32 s11, 0
	s_cbranch_vccnz .LBB42_106
; %bb.103:                              ;   in Loop: Header=BB42_102 Depth=1
	v_mov_b32_e32 v1, s4
	s_mov_b32 s12, 0
	v_mov_b32_e32 v2, s5
.LBB42_104:                             ;   Parent Loop BB42_102 Depth=1
                                        ; =>  This Inner Loop Header: Depth=2
	v_mov_b32_e32 v10, s12
	ds_read2_b32 v[4:5], v10 offset1:1
	ds_read2_b32 v[6:7], v10 offset0:2 offset1:3
	ds_read2_b32 v[8:9], v10 offset0:4 offset1:5
	;; [unrolled: 1-line block ×3, first 2 shown]
	s_add_i32 s11, s11, 8
	s_waitcnt lgkmcnt(3)
	v_cmp_gt_i32_e32 vcc, v3, v4
	v_cndmask_b32_e64 v4, 0, 1, vcc
	v_cmp_gt_i32_e32 vcc, v3, v5
	v_cndmask_b32_e64 v5, 0, 1, vcc
	s_waitcnt lgkmcnt(2)
	v_cmp_gt_i32_e32 vcc, v3, v6
	v_cndmask_b32_e64 v6, 0, 1, vcc
	v_cmp_gt_i32_e32 vcc, v3, v7
	v_cndmask_b32_e64 v7, 0, 1, vcc
	;; [unrolled: 5-line block ×4, first 2 shown]
	v_add_co_u32_e32 v1, vcc, v1, v4
	v_addc_co_u32_e32 v2, vcc, 0, v2, vcc
	v_add_co_u32_e32 v1, vcc, v1, v5
	v_addc_co_u32_e32 v2, vcc, 0, v2, vcc
	;; [unrolled: 2-line block ×7, first 2 shown]
	s_add_i32 s12, s12, 32
	v_add_co_u32_e32 v1, vcc, v1, v11
	s_cmp_eq_u32 s10, s11
	v_addc_co_u32_e32 v2, vcc, 0, v2, vcc
	s_cbranch_scc0 .LBB42_104
; %bb.105:                              ;   in Loop: Header=BB42_102 Depth=1
	s_mov_b32 s11, s10
.LBB42_106:                             ;   in Loop: Header=BB42_102 Depth=1
	s_andn2_b64 vcc, exec, s[6:7]
	s_cbranch_vccnz .LBB42_101
; %bb.107:                              ;   in Loop: Header=BB42_102 Depth=1
	s_lshl_b32 s11, s11, 2
	s_add_i32 s11, s11, 0
	s_mov_b32 s12, s9
.LBB42_108:                             ;   Parent Loop BB42_102 Depth=1
                                        ; =>  This Inner Loop Header: Depth=2
	v_mov_b32_e32 v4, s11
	ds_read_b32 v4, v4
	s_add_i32 s11, s11, 4
	s_add_i32 s12, s12, -1
	s_cmp_lg_u32 s12, 0
	s_waitcnt lgkmcnt(0)
	v_cmp_gt_i32_e32 vcc, v3, v4
	v_cndmask_b32_e64 v4, 0, 1, vcc
	v_add_co_u32_e32 v1, vcc, v1, v4
	v_addc_co_u32_e32 v2, vcc, 0, v2, vcc
	s_cbranch_scc1 .LBB42_108
	s_branch .LBB42_101
.LBB42_109:
	s_endpgm
	.section	.rodata,"a",@progbits
	.p2align	6, 0x0
	.amdhsa_kernel _ZN9rocsparseL35csrgemm_symbolic_fill_block_per_rowILj1024ELj64ELj32768ELj137ELj32EliEEvT5_PKS1_S3_PKT4_S3_S6_S3_S6_S3_S6_PS1_21rocsparse_index_base_S8_S8_S8_bb
		.amdhsa_group_segment_fixed_size 0
		.amdhsa_private_segment_fixed_size 0
		.amdhsa_kernarg_size 108
		.amdhsa_user_sgpr_count 6
		.amdhsa_user_sgpr_private_segment_buffer 1
		.amdhsa_user_sgpr_dispatch_ptr 0
		.amdhsa_user_sgpr_queue_ptr 0
		.amdhsa_user_sgpr_kernarg_segment_ptr 1
		.amdhsa_user_sgpr_dispatch_id 0
		.amdhsa_user_sgpr_flat_scratch_init 0
		.amdhsa_user_sgpr_private_segment_size 0
		.amdhsa_uses_dynamic_stack 0
		.amdhsa_system_sgpr_private_segment_wavefront_offset 0
		.amdhsa_system_sgpr_workgroup_id_x 1
		.amdhsa_system_sgpr_workgroup_id_y 0
		.amdhsa_system_sgpr_workgroup_id_z 0
		.amdhsa_system_sgpr_workgroup_info 0
		.amdhsa_system_vgpr_workitem_id 0
		.amdhsa_next_free_vgpr 18
		.amdhsa_next_free_sgpr 96
		.amdhsa_reserve_vcc 1
		.amdhsa_reserve_flat_scratch 0
		.amdhsa_float_round_mode_32 0
		.amdhsa_float_round_mode_16_64 0
		.amdhsa_float_denorm_mode_32 3
		.amdhsa_float_denorm_mode_16_64 3
		.amdhsa_dx10_clamp 1
		.amdhsa_ieee_mode 1
		.amdhsa_fp16_overflow 0
		.amdhsa_exception_fp_ieee_invalid_op 0
		.amdhsa_exception_fp_denorm_src 0
		.amdhsa_exception_fp_ieee_div_zero 0
		.amdhsa_exception_fp_ieee_overflow 0
		.amdhsa_exception_fp_ieee_underflow 0
		.amdhsa_exception_fp_ieee_inexact 0
		.amdhsa_exception_int_div_zero 0
	.end_amdhsa_kernel
	.section	.text._ZN9rocsparseL35csrgemm_symbolic_fill_block_per_rowILj1024ELj64ELj32768ELj137ELj32EliEEvT5_PKS1_S3_PKT4_S3_S6_S3_S6_S3_S6_PS1_21rocsparse_index_base_S8_S8_S8_bb,"axG",@progbits,_ZN9rocsparseL35csrgemm_symbolic_fill_block_per_rowILj1024ELj64ELj32768ELj137ELj32EliEEvT5_PKS1_S3_PKT4_S3_S6_S3_S6_S3_S6_PS1_21rocsparse_index_base_S8_S8_S8_bb,comdat
.Lfunc_end42:
	.size	_ZN9rocsparseL35csrgemm_symbolic_fill_block_per_rowILj1024ELj64ELj32768ELj137ELj32EliEEvT5_PKS1_S3_PKT4_S3_S6_S3_S6_S3_S6_PS1_21rocsparse_index_base_S8_S8_S8_bb, .Lfunc_end42-_ZN9rocsparseL35csrgemm_symbolic_fill_block_per_rowILj1024ELj64ELj32768ELj137ELj32EliEEvT5_PKS1_S3_PKT4_S3_S6_S3_S6_S3_S6_PS1_21rocsparse_index_base_S8_S8_S8_bb
                                        ; -- End function
	.set _ZN9rocsparseL35csrgemm_symbolic_fill_block_per_rowILj1024ELj64ELj32768ELj137ELj32EliEEvT5_PKS1_S3_PKT4_S3_S6_S3_S6_S3_S6_PS1_21rocsparse_index_base_S8_S8_S8_bb.num_vgpr, 18
	.set _ZN9rocsparseL35csrgemm_symbolic_fill_block_per_rowILj1024ELj64ELj32768ELj137ELj32EliEEvT5_PKS1_S3_PKT4_S3_S6_S3_S6_S3_S6_PS1_21rocsparse_index_base_S8_S8_S8_bb.num_agpr, 0
	.set _ZN9rocsparseL35csrgemm_symbolic_fill_block_per_rowILj1024ELj64ELj32768ELj137ELj32EliEEvT5_PKS1_S3_PKT4_S3_S6_S3_S6_S3_S6_PS1_21rocsparse_index_base_S8_S8_S8_bb.numbered_sgpr, 96
	.set _ZN9rocsparseL35csrgemm_symbolic_fill_block_per_rowILj1024ELj64ELj32768ELj137ELj32EliEEvT5_PKS1_S3_PKT4_S3_S6_S3_S6_S3_S6_PS1_21rocsparse_index_base_S8_S8_S8_bb.num_named_barrier, 0
	.set _ZN9rocsparseL35csrgemm_symbolic_fill_block_per_rowILj1024ELj64ELj32768ELj137ELj32EliEEvT5_PKS1_S3_PKT4_S3_S6_S3_S6_S3_S6_PS1_21rocsparse_index_base_S8_S8_S8_bb.private_seg_size, 0
	.set _ZN9rocsparseL35csrgemm_symbolic_fill_block_per_rowILj1024ELj64ELj32768ELj137ELj32EliEEvT5_PKS1_S3_PKT4_S3_S6_S3_S6_S3_S6_PS1_21rocsparse_index_base_S8_S8_S8_bb.uses_vcc, 1
	.set _ZN9rocsparseL35csrgemm_symbolic_fill_block_per_rowILj1024ELj64ELj32768ELj137ELj32EliEEvT5_PKS1_S3_PKT4_S3_S6_S3_S6_S3_S6_PS1_21rocsparse_index_base_S8_S8_S8_bb.uses_flat_scratch, 0
	.set _ZN9rocsparseL35csrgemm_symbolic_fill_block_per_rowILj1024ELj64ELj32768ELj137ELj32EliEEvT5_PKS1_S3_PKT4_S3_S6_S3_S6_S3_S6_PS1_21rocsparse_index_base_S8_S8_S8_bb.has_dyn_sized_stack, 0
	.set _ZN9rocsparseL35csrgemm_symbolic_fill_block_per_rowILj1024ELj64ELj32768ELj137ELj32EliEEvT5_PKS1_S3_PKT4_S3_S6_S3_S6_S3_S6_PS1_21rocsparse_index_base_S8_S8_S8_bb.has_recursion, 0
	.set _ZN9rocsparseL35csrgemm_symbolic_fill_block_per_rowILj1024ELj64ELj32768ELj137ELj32EliEEvT5_PKS1_S3_PKT4_S3_S6_S3_S6_S3_S6_PS1_21rocsparse_index_base_S8_S8_S8_bb.has_indirect_call, 0
	.section	.AMDGPU.csdata,"",@progbits
; Kernel info:
; codeLenInByte = 4136
; TotalNumSgprs: 100
; NumVgprs: 18
; ScratchSize: 0
; MemoryBound: 0
; FloatMode: 240
; IeeeMode: 1
; LDSByteSize: 0 bytes/workgroup (compile time only)
; SGPRBlocks: 12
; VGPRBlocks: 4
; NumSGPRsForWavesPerEU: 100
; NumVGPRsForWavesPerEU: 18
; Occupancy: 8
; WaveLimiterHint : 1
; COMPUTE_PGM_RSRC2:SCRATCH_EN: 0
; COMPUTE_PGM_RSRC2:USER_SGPR: 6
; COMPUTE_PGM_RSRC2:TRAP_HANDLER: 0
; COMPUTE_PGM_RSRC2:TGID_X_EN: 1
; COMPUTE_PGM_RSRC2:TGID_Y_EN: 0
; COMPUTE_PGM_RSRC2:TGID_Z_EN: 0
; COMPUTE_PGM_RSRC2:TIDIG_COMP_CNT: 0
	.section	.text._ZN9rocsparseL35csrgemm_symbolic_fill_block_per_rowILj1024ELj64ELj32768ELj137ELj64EliEEvT5_PKS1_S3_PKT4_S3_S6_S3_S6_S3_S6_PS1_21rocsparse_index_base_S8_S8_S8_bb,"axG",@progbits,_ZN9rocsparseL35csrgemm_symbolic_fill_block_per_rowILj1024ELj64ELj32768ELj137ELj64EliEEvT5_PKS1_S3_PKT4_S3_S6_S3_S6_S3_S6_PS1_21rocsparse_index_base_S8_S8_S8_bb,comdat
	.globl	_ZN9rocsparseL35csrgemm_symbolic_fill_block_per_rowILj1024ELj64ELj32768ELj137ELj64EliEEvT5_PKS1_S3_PKT4_S3_S6_S3_S6_S3_S6_PS1_21rocsparse_index_base_S8_S8_S8_bb ; -- Begin function _ZN9rocsparseL35csrgemm_symbolic_fill_block_per_rowILj1024ELj64ELj32768ELj137ELj64EliEEvT5_PKS1_S3_PKT4_S3_S6_S3_S6_S3_S6_PS1_21rocsparse_index_base_S8_S8_S8_bb
	.p2align	8
	.type	_ZN9rocsparseL35csrgemm_symbolic_fill_block_per_rowILj1024ELj64ELj32768ELj137ELj64EliEEvT5_PKS1_S3_PKT4_S3_S6_S3_S6_S3_S6_PS1_21rocsparse_index_base_S8_S8_S8_bb,@function
_ZN9rocsparseL35csrgemm_symbolic_fill_block_per_rowILj1024ELj64ELj32768ELj137ELj64EliEEvT5_PKS1_S3_PKT4_S3_S6_S3_S6_S3_S6_PS1_21rocsparse_index_base_S8_S8_S8_bb: ; @_ZN9rocsparseL35csrgemm_symbolic_fill_block_per_rowILj1024ELj64ELj32768ELj137ELj64EliEEvT5_PKS1_S3_PKT4_S3_S6_S3_S6_S3_S6_PS1_21rocsparse_index_base_S8_S8_S8_bb
; %bb.0:
	s_load_dwordx4 s[36:39], s[4:5], 0x48
	s_load_dwordx8 s[8:15], s[4:5], 0x28
	s_load_dword s33, s[4:5], 0x0
	s_load_dwordx8 s[16:23], s[4:5], 0x8
	v_or_b32_e32 v7, 0xfffffc00, v0
	v_lshl_add_u32 v8, v0, 2, 0
	s_mov_b64 s[0:1], 0
	s_waitcnt lgkmcnt(0)
	v_mov_b32_e32 v1, s33
	s_movk_i32 s2, 0x7bff
	v_mov_b32_e32 v2, v8
	v_mov_b32_e32 v3, v7
.LBB43_1:                               ; =>This Inner Loop Header: Depth=1
	v_add_u32_e32 v3, 0x400, v3
	v_cmp_lt_u32_e32 vcc, s2, v3
	ds_write_b32 v2, v1
	s_or_b64 s[0:1], vcc, s[0:1]
	v_add_u32_e32 v2, 0x1000, v2
	s_andn2_b64 exec, exec, s[0:1]
	s_cbranch_execnz .LBB43_1
; %bb.2:
	s_or_b64 exec, exec, s[0:1]
	s_load_dword s30, s[4:5], 0x68
	s_waitcnt lgkmcnt(0)
	s_barrier
	s_load_dword s2, s[16:17], 0x0
	s_load_dwordx4 s[40:43], s[4:5], 0x58
	s_bitcmp1_b32 s30, 0
	s_cselect_b64 s[0:1], -1, 0
	s_mov_b32 s3, 0
	s_waitcnt lgkmcnt(0)
	s_add_i32 s2, s2, s6
	s_lshl_b64 s[2:3], s[2:3], 2
	s_add_u32 s2, s18, s2
	s_addc_u32 s3, s19, s3
	s_load_dword s34, s[2:3], 0x0
	v_lshrrev_b32_e32 v9, 6, v0
	s_and_b64 vcc, exec, s[0:1]
	s_cbranch_vccz .LBB43_18
; %bb.3:
	s_waitcnt lgkmcnt(0)
	s_ashr_i32 s35, s34, 31
	s_lshl_b64 s[0:1], s[34:35], 3
	s_add_u32 s0, s20, s0
	s_addc_u32 s1, s21, s1
	s_load_dwordx4 s[4:7], s[0:1], 0x0
	v_subrev_co_u32_e32 v1, vcc, s40, v9
	v_subb_co_u32_e64 v2, s[0:1], 0, 0, vcc
	s_waitcnt lgkmcnt(0)
	s_sub_u32 s0, s6, s40
	v_mov_b32_e32 v3, s5
	v_add_co_u32_e32 v1, vcc, s4, v1
	s_subb_u32 s1, s7, 0
	v_addc_co_u32_e32 v2, vcc, v3, v2, vcc
	v_cmp_gt_i64_e32 vcc, s[0:1], v[1:2]
	s_and_saveexec_b64 s[2:3], vcc
	s_cbranch_execz .LBB43_17
; %bb.4:
	v_and_b32_e32 v3, 63, v0
	v_subrev_co_u32_e32 v10, vcc, s41, v3
	v_subb_co_u32_e64 v11, s[4:5], 0, 0, vcc
	s_mov_b32 s31, s41
	s_mov_b64 s[4:5], 0
	v_mov_b32_e32 v12, s23
	v_mov_b32_e32 v13, s9
	s_movk_i32 s9, 0x89
	s_branch .LBB43_6
.LBB43_5:                               ;   in Loop: Header=BB43_6 Depth=1
	s_or_b64 exec, exec, s[6:7]
	v_add_co_u32_e32 v1, vcc, 16, v1
	v_addc_co_u32_e32 v2, vcc, 0, v2, vcc
	v_cmp_le_i64_e32 vcc, s[0:1], v[1:2]
	s_or_b64 s[4:5], vcc, s[4:5]
	s_andn2_b64 exec, exec, s[4:5]
	s_cbranch_execz .LBB43_17
.LBB43_6:                               ; =>This Loop Header: Depth=1
                                        ;     Child Loop BB43_9 Depth 2
                                        ;       Child Loop BB43_12 Depth 3
	v_lshlrev_b64 v[3:4], 2, v[1:2]
	v_add_co_u32_e32 v3, vcc, s22, v3
	v_addc_co_u32_e32 v4, vcc, v12, v4, vcc
	global_load_dword v3, v[3:4], off
	s_waitcnt vmcnt(0)
	v_subrev_u32_e32 v3, s40, v3
	v_ashrrev_i32_e32 v4, 31, v3
	v_lshlrev_b64 v[3:4], 3, v[3:4]
	v_add_co_u32_e32 v3, vcc, s8, v3
	v_addc_co_u32_e32 v4, vcc, v13, v4, vcc
	global_load_dwordx4 v[14:17], v[3:4], off
	s_waitcnt vmcnt(0)
	v_subrev_co_u32_e32 v3, vcc, s31, v16
	v_subbrev_co_u32_e32 v4, vcc, 0, v17, vcc
	v_add_co_u32_e32 v5, vcc, v14, v10
	v_addc_co_u32_e32 v6, vcc, v15, v11, vcc
	v_cmp_lt_i64_e32 vcc, v[5:6], v[3:4]
	s_and_saveexec_b64 s[6:7], vcc
	s_cbranch_execz .LBB43_5
; %bb.7:                                ;   in Loop: Header=BB43_6 Depth=1
	s_mov_b64 s[16:17], 0
	s_branch .LBB43_9
.LBB43_8:                               ;   in Loop: Header=BB43_9 Depth=2
	s_or_b64 exec, exec, s[18:19]
	v_add_co_u32_e32 v5, vcc, 64, v5
	v_addc_co_u32_e32 v6, vcc, 0, v6, vcc
	v_cmp_ge_i64_e32 vcc, v[5:6], v[3:4]
	s_or_b64 s[16:17], vcc, s[16:17]
	s_andn2_b64 exec, exec, s[16:17]
	s_cbranch_execz .LBB43_5
.LBB43_9:                               ;   Parent Loop BB43_6 Depth=1
                                        ; =>  This Loop Header: Depth=2
                                        ;       Child Loop BB43_12 Depth 3
	v_lshlrev_b64 v[14:15], 2, v[5:6]
	v_mov_b32_e32 v16, s11
	v_add_co_u32_e32 v14, vcc, s10, v14
	v_addc_co_u32_e32 v15, vcc, v16, v15, vcc
	global_load_dword v14, v[14:15], off
	s_mov_b64 s[18:19], 0
                                        ; implicit-def: $sgpr20_sgpr21
	s_waitcnt vmcnt(0)
	v_subrev_u32_e32 v14, s41, v14
	v_mul_lo_u32 v15, v14, s9
	v_and_b32_e32 v15, 0x7fff, v15
	s_branch .LBB43_12
.LBB43_10:                              ;   in Loop: Header=BB43_12 Depth=3
	s_or_b64 exec, exec, s[26:27]
	s_andn2_b64 s[20:21], s[20:21], exec
	s_and_b64 s[26:27], s[28:29], exec
	s_or_b64 s[20:21], s[20:21], s[26:27]
.LBB43_11:                              ;   in Loop: Header=BB43_12 Depth=3
	s_or_b64 exec, exec, s[24:25]
	s_xor_b64 s[24:25], s[20:21], -1
	s_and_b64 s[24:25], exec, s[24:25]
	s_or_b64 s[18:19], s[24:25], s[18:19]
	s_andn2_b64 exec, exec, s[18:19]
	s_cbranch_execz .LBB43_8
.LBB43_12:                              ;   Parent Loop BB43_6 Depth=1
                                        ;     Parent Loop BB43_9 Depth=2
                                        ; =>    This Inner Loop Header: Depth=3
	v_lshl_add_u32 v16, v15, 2, 0
	ds_read_b32 v17, v16
	s_andn2_b64 s[20:21], s[20:21], exec
	s_waitcnt lgkmcnt(0)
	v_cmp_ne_u32_e32 vcc, v17, v14
	s_and_saveexec_b64 s[24:25], vcc
	s_cbranch_execz .LBB43_11
; %bb.13:                               ;   in Loop: Header=BB43_12 Depth=3
	v_cmp_ne_u32_e32 vcc, s33, v17
	s_and_saveexec_b64 s[26:27], vcc
	s_xor_b64 s[26:27], exec, s[26:27]
; %bb.14:                               ;   in Loop: Header=BB43_12 Depth=3
	v_add_u32_e32 v15, 1, v15
	v_and_b32_e32 v15, 0x7fff, v15
                                        ; implicit-def: $vgpr16
; %bb.15:                               ;   in Loop: Header=BB43_12 Depth=3
	s_or_saveexec_b64 s[26:27], s[26:27]
	s_mov_b64 s[28:29], -1
	s_xor_b64 exec, exec, s[26:27]
	s_cbranch_execz .LBB43_10
; %bb.16:                               ;   in Loop: Header=BB43_12 Depth=3
	v_mov_b32_e32 v17, s33
	ds_cmpst_rtn_b32 v16, v16, v17, v14
	s_waitcnt lgkmcnt(0)
	v_cmp_ne_u32_e32 vcc, s33, v16
	s_orn2_b64 s[28:29], vcc, exec
	s_branch .LBB43_10
.LBB43_17:
	s_or_b64 exec, exec, s[2:3]
.LBB43_18:
	s_bfe_u32 s0, s30, 0x10008
	s_cmp_eq_u32 s0, 0
	s_cbranch_scc1 .LBB43_31
; %bb.19:
	s_waitcnt lgkmcnt(0)
	s_ashr_i32 s35, s34, 31
	s_lshl_b64 s[0:1], s[34:35], 3
	s_add_u32 s0, s12, s0
	s_addc_u32 s1, s13, s1
	s_load_dwordx4 s[4:7], s[0:1], 0x0
	v_subrev_co_u32_e32 v1, vcc, s43, v0
	v_subb_co_u32_e64 v2, s[0:1], 0, 0, vcc
	s_waitcnt lgkmcnt(0)
	s_sub_u32 s0, s6, s43
	v_mov_b32_e32 v3, s5
	v_add_co_u32_e32 v1, vcc, s4, v1
	s_subb_u32 s1, s7, 0
	v_addc_co_u32_e32 v2, vcc, v3, v2, vcc
	v_cmp_gt_i64_e32 vcc, s[0:1], v[1:2]
	s_and_saveexec_b64 s[2:3], vcc
	s_cbranch_execz .LBB43_30
; %bb.20:
	s_mov_b64 s[4:5], 0
	v_mov_b32_e32 v3, s15
	s_movk_i32 s15, 0x89
	s_branch .LBB43_22
.LBB43_21:                              ;   in Loop: Header=BB43_22 Depth=1
	s_or_b64 exec, exec, s[6:7]
	v_add_co_u32_e32 v1, vcc, 0x400, v1
	v_addc_co_u32_e32 v2, vcc, 0, v2, vcc
	v_cmp_le_i64_e32 vcc, s[0:1], v[1:2]
	s_or_b64 s[4:5], vcc, s[4:5]
	s_andn2_b64 exec, exec, s[4:5]
	s_cbranch_execz .LBB43_30
.LBB43_22:                              ; =>This Loop Header: Depth=1
                                        ;     Child Loop BB43_25 Depth 2
	v_lshlrev_b64 v[4:5], 2, v[1:2]
	s_mov_b64 s[6:7], 0
	v_add_co_u32_e32 v4, vcc, s14, v4
	v_addc_co_u32_e32 v5, vcc, v3, v5, vcc
	global_load_dword v4, v[4:5], off
                                        ; implicit-def: $sgpr8_sgpr9
	s_waitcnt vmcnt(0)
	v_subrev_u32_e32 v4, s43, v4
	v_mul_lo_u32 v5, v4, s15
	v_and_b32_e32 v5, 0x7fff, v5
	s_branch .LBB43_25
.LBB43_23:                              ;   in Loop: Header=BB43_25 Depth=2
	s_or_b64 exec, exec, s[12:13]
	s_andn2_b64 s[8:9], s[8:9], exec
	s_and_b64 s[12:13], s[16:17], exec
	s_or_b64 s[8:9], s[8:9], s[12:13]
.LBB43_24:                              ;   in Loop: Header=BB43_25 Depth=2
	s_or_b64 exec, exec, s[10:11]
	s_xor_b64 s[10:11], s[8:9], -1
	s_and_b64 s[10:11], exec, s[10:11]
	s_or_b64 s[6:7], s[10:11], s[6:7]
	s_andn2_b64 exec, exec, s[6:7]
	s_cbranch_execz .LBB43_21
.LBB43_25:                              ;   Parent Loop BB43_22 Depth=1
                                        ; =>  This Inner Loop Header: Depth=2
	v_lshl_add_u32 v6, v5, 2, 0
	ds_read_b32 v10, v6
	s_andn2_b64 s[8:9], s[8:9], exec
	s_waitcnt lgkmcnt(0)
	v_cmp_ne_u32_e32 vcc, v10, v4
	s_and_saveexec_b64 s[10:11], vcc
	s_cbranch_execz .LBB43_24
; %bb.26:                               ;   in Loop: Header=BB43_25 Depth=2
	v_cmp_ne_u32_e32 vcc, s33, v10
	s_and_saveexec_b64 s[12:13], vcc
	s_xor_b64 s[12:13], exec, s[12:13]
; %bb.27:                               ;   in Loop: Header=BB43_25 Depth=2
	v_add_u32_e32 v5, 1, v5
	v_and_b32_e32 v5, 0x7fff, v5
                                        ; implicit-def: $vgpr6
; %bb.28:                               ;   in Loop: Header=BB43_25 Depth=2
	s_or_saveexec_b64 s[12:13], s[12:13]
	s_mov_b64 s[16:17], -1
	s_xor_b64 exec, exec, s[12:13]
	s_cbranch_execz .LBB43_23
; %bb.29:                               ;   in Loop: Header=BB43_25 Depth=2
	v_mov_b32_e32 v10, s33
	ds_cmpst_rtn_b32 v6, v6, v10, v4
	s_waitcnt lgkmcnt(0)
	v_cmp_ne_u32_e32 vcc, s33, v6
	s_orn2_b64 s[16:17], vcc, exec
	s_branch .LBB43_23
.LBB43_30:
	s_or_b64 exec, exec, s[2:3]
.LBB43_31:
	v_mbcnt_lo_u32_b32 v1, -1, 0
	v_mbcnt_hi_u32_b32 v1, -1, v1
	v_sub_u32_e32 v1, 63, v1
	v_lshrrev_b64 v[1:2], v1, -1
	s_add_i32 s35, 0, 0x20000
	s_movk_i32 s0, 0x3ff
	s_movk_i32 s2, 0x7f
	;; [unrolled: 1-line block ×15, first 2 shown]
	v_lshl_add_u32 v3, v9, 2, s35
	v_cmp_eq_u32_e32 vcc, s0, v0
	v_cmp_lt_u32_e64 s[0:1], 63, v0
	v_cmp_lt_u32_e64 s[2:3], s2, v0
	;; [unrolled: 1-line block ×15, first 2 shown]
	s_mov_b64 s[40:41], 0
	v_mov_b32_e32 v4, 0
	s_add_i32 s43, 0, 0x20004
	s_add_i32 s46, 0, 0x20008
	;; [unrolled: 1-line block ×15, first 2 shown]
	s_movk_i32 s60, 0x7bff
	s_waitcnt lgkmcnt(0)
	s_barrier
	s_branch .LBB43_33
.LBB43_32:                              ;   in Loop: Header=BB43_33 Depth=1
	s_or_b64 exec, exec, s[30:31]
	v_mov_b32_e32 v5, s59
	s_waitcnt lgkmcnt(0)
	s_barrier
	ds_read_b32 v5, v5
	v_add_u32_e32 v7, 0x400, v7
	v_cmp_lt_u32_e64 s[30:31], s60, v7
	s_or_b64 s[40:41], s[30:31], s[40:41]
	v_add_u32_e32 v8, 0x1000, v8
	s_waitcnt lgkmcnt(0)
	v_add_u32_e32 v4, v5, v4
	s_andn2_b64 exec, exec, s[40:41]
	s_cbranch_execz .LBB43_67
.LBB43_33:                              ; =>This Inner Loop Header: Depth=1
	ds_read_b32 v5, v8
	s_waitcnt lgkmcnt(0)
	s_barrier
	v_cmp_gt_i32_e64 s[30:31], s33, v5
	v_and_b32_e32 v9, s30, v1
	s_bcnt1_i32_b64 s44, s[30:31]
	v_and_b32_e32 v6, s31, v2
	v_bcnt_u32_b32 v9, v9, 0
	v_bcnt_u32_b32 v6, v6, v9
	v_mov_b32_e32 v9, s44
	ds_write_b32 v3, v9
	s_waitcnt lgkmcnt(0)
	s_barrier
	s_and_saveexec_b64 s[44:45], s[0:1]
	s_cbranch_execnz .LBB43_50
; %bb.34:                               ;   in Loop: Header=BB43_33 Depth=1
	s_or_b64 exec, exec, s[44:45]
	s_and_saveexec_b64 s[44:45], s[2:3]
	s_cbranch_execnz .LBB43_51
.LBB43_35:                              ;   in Loop: Header=BB43_33 Depth=1
	s_or_b64 exec, exec, s[44:45]
	s_and_saveexec_b64 s[44:45], s[4:5]
	s_cbranch_execnz .LBB43_52
.LBB43_36:                              ;   in Loop: Header=BB43_33 Depth=1
	s_or_b64 exec, exec, s[44:45]
	s_and_saveexec_b64 s[44:45], s[6:7]
	s_cbranch_execnz .LBB43_53
.LBB43_37:                              ;   in Loop: Header=BB43_33 Depth=1
	s_or_b64 exec, exec, s[44:45]
	s_and_saveexec_b64 s[44:45], s[8:9]
	s_cbranch_execnz .LBB43_54
.LBB43_38:                              ;   in Loop: Header=BB43_33 Depth=1
	s_or_b64 exec, exec, s[44:45]
	s_and_saveexec_b64 s[44:45], s[10:11]
	s_cbranch_execnz .LBB43_55
.LBB43_39:                              ;   in Loop: Header=BB43_33 Depth=1
	s_or_b64 exec, exec, s[44:45]
	s_and_saveexec_b64 s[44:45], s[12:13]
	s_cbranch_execnz .LBB43_56
.LBB43_40:                              ;   in Loop: Header=BB43_33 Depth=1
	s_or_b64 exec, exec, s[44:45]
	s_and_saveexec_b64 s[44:45], s[14:15]
	s_cbranch_execnz .LBB43_57
.LBB43_41:                              ;   in Loop: Header=BB43_33 Depth=1
	s_or_b64 exec, exec, s[44:45]
	s_and_saveexec_b64 s[44:45], s[16:17]
	s_cbranch_execnz .LBB43_58
.LBB43_42:                              ;   in Loop: Header=BB43_33 Depth=1
	s_or_b64 exec, exec, s[44:45]
	s_and_saveexec_b64 s[44:45], s[18:19]
	s_cbranch_execnz .LBB43_59
.LBB43_43:                              ;   in Loop: Header=BB43_33 Depth=1
	s_or_b64 exec, exec, s[44:45]
	s_and_saveexec_b64 s[44:45], s[20:21]
	s_cbranch_execnz .LBB43_60
.LBB43_44:                              ;   in Loop: Header=BB43_33 Depth=1
	s_or_b64 exec, exec, s[44:45]
	s_and_saveexec_b64 s[44:45], s[22:23]
	s_cbranch_execnz .LBB43_61
.LBB43_45:                              ;   in Loop: Header=BB43_33 Depth=1
	s_or_b64 exec, exec, s[44:45]
	s_and_saveexec_b64 s[44:45], s[24:25]
	s_cbranch_execnz .LBB43_62
.LBB43_46:                              ;   in Loop: Header=BB43_33 Depth=1
	s_or_b64 exec, exec, s[44:45]
	s_and_saveexec_b64 s[44:45], s[26:27]
	s_cbranch_execnz .LBB43_63
.LBB43_47:                              ;   in Loop: Header=BB43_33 Depth=1
	s_or_b64 exec, exec, s[44:45]
	s_and_saveexec_b64 s[44:45], s[28:29]
	s_cbranch_execnz .LBB43_64
.LBB43_48:                              ;   in Loop: Header=BB43_33 Depth=1
	s_or_b64 exec, exec, s[44:45]
	s_and_saveexec_b64 s[44:45], s[30:31]
	s_cbranch_execnz .LBB43_65
.LBB43_49:                              ;   in Loop: Header=BB43_33 Depth=1
	s_or_b64 exec, exec, s[44:45]
	s_and_saveexec_b64 s[30:31], vcc
	s_cbranch_execz .LBB43_32
	s_branch .LBB43_66
.LBB43_50:                              ;   in Loop: Header=BB43_33 Depth=1
	v_mov_b32_e32 v9, s35
	ds_read_b32 v9, v9
	s_waitcnt lgkmcnt(0)
	v_add_u32_e32 v6, v9, v6
	s_or_b64 exec, exec, s[44:45]
	s_and_saveexec_b64 s[44:45], s[2:3]
	s_cbranch_execz .LBB43_35
.LBB43_51:                              ;   in Loop: Header=BB43_33 Depth=1
	v_mov_b32_e32 v9, s43
	ds_read_b32 v9, v9
	s_waitcnt lgkmcnt(0)
	v_add_u32_e32 v6, v9, v6
	s_or_b64 exec, exec, s[44:45]
	s_and_saveexec_b64 s[44:45], s[4:5]
	s_cbranch_execz .LBB43_36
.LBB43_52:                              ;   in Loop: Header=BB43_33 Depth=1
	v_mov_b32_e32 v9, s46
	ds_read_b32 v9, v9
	s_waitcnt lgkmcnt(0)
	v_add_u32_e32 v6, v9, v6
	s_or_b64 exec, exec, s[44:45]
	s_and_saveexec_b64 s[44:45], s[6:7]
	s_cbranch_execz .LBB43_37
.LBB43_53:                              ;   in Loop: Header=BB43_33 Depth=1
	v_mov_b32_e32 v9, s47
	ds_read_b32 v9, v9
	s_waitcnt lgkmcnt(0)
	v_add_u32_e32 v6, v9, v6
	s_or_b64 exec, exec, s[44:45]
	s_and_saveexec_b64 s[44:45], s[8:9]
	s_cbranch_execz .LBB43_38
.LBB43_54:                              ;   in Loop: Header=BB43_33 Depth=1
	v_mov_b32_e32 v9, s48
	ds_read_b32 v9, v9
	s_waitcnt lgkmcnt(0)
	v_add_u32_e32 v6, v9, v6
	s_or_b64 exec, exec, s[44:45]
	s_and_saveexec_b64 s[44:45], s[10:11]
	s_cbranch_execz .LBB43_39
.LBB43_55:                              ;   in Loop: Header=BB43_33 Depth=1
	v_mov_b32_e32 v9, s49
	ds_read_b32 v9, v9
	s_waitcnt lgkmcnt(0)
	v_add_u32_e32 v6, v9, v6
	s_or_b64 exec, exec, s[44:45]
	s_and_saveexec_b64 s[44:45], s[12:13]
	s_cbranch_execz .LBB43_40
.LBB43_56:                              ;   in Loop: Header=BB43_33 Depth=1
	v_mov_b32_e32 v9, s50
	ds_read_b32 v9, v9
	s_waitcnt lgkmcnt(0)
	v_add_u32_e32 v6, v9, v6
	s_or_b64 exec, exec, s[44:45]
	s_and_saveexec_b64 s[44:45], s[14:15]
	s_cbranch_execz .LBB43_41
.LBB43_57:                              ;   in Loop: Header=BB43_33 Depth=1
	v_mov_b32_e32 v9, s51
	ds_read_b32 v9, v9
	s_waitcnt lgkmcnt(0)
	v_add_u32_e32 v6, v9, v6
	s_or_b64 exec, exec, s[44:45]
	s_and_saveexec_b64 s[44:45], s[16:17]
	s_cbranch_execz .LBB43_42
.LBB43_58:                              ;   in Loop: Header=BB43_33 Depth=1
	v_mov_b32_e32 v9, s52
	ds_read_b32 v9, v9
	s_waitcnt lgkmcnt(0)
	v_add_u32_e32 v6, v9, v6
	s_or_b64 exec, exec, s[44:45]
	s_and_saveexec_b64 s[44:45], s[18:19]
	s_cbranch_execz .LBB43_43
.LBB43_59:                              ;   in Loop: Header=BB43_33 Depth=1
	v_mov_b32_e32 v9, s53
	ds_read_b32 v9, v9
	s_waitcnt lgkmcnt(0)
	v_add_u32_e32 v6, v9, v6
	s_or_b64 exec, exec, s[44:45]
	s_and_saveexec_b64 s[44:45], s[20:21]
	s_cbranch_execz .LBB43_44
.LBB43_60:                              ;   in Loop: Header=BB43_33 Depth=1
	v_mov_b32_e32 v9, s54
	ds_read_b32 v9, v9
	s_waitcnt lgkmcnt(0)
	v_add_u32_e32 v6, v9, v6
	s_or_b64 exec, exec, s[44:45]
	s_and_saveexec_b64 s[44:45], s[22:23]
	s_cbranch_execz .LBB43_45
.LBB43_61:                              ;   in Loop: Header=BB43_33 Depth=1
	v_mov_b32_e32 v9, s55
	ds_read_b32 v9, v9
	s_waitcnt lgkmcnt(0)
	v_add_u32_e32 v6, v9, v6
	s_or_b64 exec, exec, s[44:45]
	s_and_saveexec_b64 s[44:45], s[24:25]
	s_cbranch_execz .LBB43_46
.LBB43_62:                              ;   in Loop: Header=BB43_33 Depth=1
	v_mov_b32_e32 v9, s56
	ds_read_b32 v9, v9
	s_waitcnt lgkmcnt(0)
	v_add_u32_e32 v6, v9, v6
	s_or_b64 exec, exec, s[44:45]
	s_and_saveexec_b64 s[44:45], s[26:27]
	s_cbranch_execz .LBB43_47
.LBB43_63:                              ;   in Loop: Header=BB43_33 Depth=1
	v_mov_b32_e32 v9, s57
	ds_read_b32 v9, v9
	s_waitcnt lgkmcnt(0)
	v_add_u32_e32 v6, v9, v6
	s_or_b64 exec, exec, s[44:45]
	s_and_saveexec_b64 s[44:45], s[28:29]
	s_cbranch_execz .LBB43_48
.LBB43_64:                              ;   in Loop: Header=BB43_33 Depth=1
	v_mov_b32_e32 v9, s58
	ds_read_b32 v9, v9
	s_waitcnt lgkmcnt(0)
	v_add_u32_e32 v6, v9, v6
	s_or_b64 exec, exec, s[44:45]
	s_and_saveexec_b64 s[44:45], s[30:31]
	s_cbranch_execz .LBB43_49
.LBB43_65:                              ;   in Loop: Header=BB43_33 Depth=1
	v_lshlrev_b32_e32 v9, 2, v4
	v_add_u32_e32 v9, 0, v9
	v_lshlrev_b32_e32 v10, 2, v6
	v_add3_u32 v9, v9, v10, -4
	ds_write_b32 v9, v5
	s_or_b64 exec, exec, s[44:45]
	s_and_saveexec_b64 s[30:31], vcc
	s_cbranch_execz .LBB43_32
.LBB43_66:                              ;   in Loop: Header=BB43_33 Depth=1
	v_mov_b32_e32 v5, s59
	ds_write_b32 v5, v6
	s_branch .LBB43_32
.LBB43_67:
	s_or_b64 exec, exec, s[40:41]
	s_ashr_i32 s35, s34, 31
	s_lshl_b64 s[0:1], s[34:35], 3
	s_add_u32 s4, s36, s0
	s_addc_u32 s5, s37, s1
	s_load_dwordx4 s[0:3], s[4:5], 0x0
	s_waitcnt lgkmcnt(0)
	s_sub_i32 s8, s2, s0
	v_cmp_gt_i32_e32 vcc, s8, v0
	s_and_saveexec_b64 s[4:5], vcc
	s_cbranch_execz .LBB43_77
; %bb.68:
	s_sub_u32 s4, s0, s42
	s_subb_u32 s5, s1, 0
	s_and_b32 s9, s8, 7
	s_sub_i32 s0, s0, s2
	s_cmp_lt_u32 s0, -7
	s_cselect_b64 s[0:1], -1, 0
	s_and_b32 s10, s8, -8
	s_cmp_lg_u32 s9, 0
	v_cndmask_b32_e64 v1, 0, 1, s[0:1]
	s_mov_b64 s[2:3], 0
	s_cselect_b64 s[6:7], -1, 0
	v_cmp_ne_u32_e64 s[0:1], 1, v1
	s_branch .LBB43_70
.LBB43_69:                              ;   in Loop: Header=BB43_70 Depth=1
	v_lshlrev_b64 v[1:2], 2, v[1:2]
	v_mov_b32_e32 v4, s39
	v_add_co_u32_e32 v1, vcc, s38, v1
	v_addc_co_u32_e32 v2, vcc, v4, v2, vcc
	v_add_u32_e32 v0, 0x400, v0
	v_cmp_le_i32_e32 vcc, s8, v0
	s_waitcnt lgkmcnt(0)
	v_add_u32_e32 v3, s42, v3
	s_or_b64 s[2:3], vcc, s[2:3]
	global_store_dword v[1:2], v3, off
	s_andn2_b64 exec, exec, s[2:3]
	s_cbranch_execz .LBB43_77
.LBB43_70:                              ; =>This Loop Header: Depth=1
                                        ;     Child Loop BB43_72 Depth 2
                                        ;     Child Loop BB43_76 Depth 2
	v_lshl_add_u32 v1, v0, 2, 0
	ds_read_b32 v3, v1
	v_mov_b32_e32 v1, s4
	s_and_b64 vcc, exec, s[0:1]
	v_mov_b32_e32 v2, s5
	s_mov_b32 s11, 0
	s_cbranch_vccnz .LBB43_74
; %bb.71:                               ;   in Loop: Header=BB43_70 Depth=1
	v_mov_b32_e32 v1, s4
	s_mov_b32 s12, 0
	v_mov_b32_e32 v2, s5
.LBB43_72:                              ;   Parent Loop BB43_70 Depth=1
                                        ; =>  This Inner Loop Header: Depth=2
	v_mov_b32_e32 v10, s12
	ds_read2_b32 v[4:5], v10 offset1:1
	ds_read2_b32 v[6:7], v10 offset0:2 offset1:3
	ds_read2_b32 v[8:9], v10 offset0:4 offset1:5
	;; [unrolled: 1-line block ×3, first 2 shown]
	s_add_i32 s11, s11, 8
	s_waitcnt lgkmcnt(3)
	v_cmp_gt_i32_e32 vcc, v3, v4
	v_cndmask_b32_e64 v4, 0, 1, vcc
	v_cmp_gt_i32_e32 vcc, v3, v5
	v_cndmask_b32_e64 v5, 0, 1, vcc
	s_waitcnt lgkmcnt(2)
	v_cmp_gt_i32_e32 vcc, v3, v6
	v_cndmask_b32_e64 v6, 0, 1, vcc
	v_cmp_gt_i32_e32 vcc, v3, v7
	v_cndmask_b32_e64 v7, 0, 1, vcc
	;; [unrolled: 5-line block ×4, first 2 shown]
	v_add_co_u32_e32 v1, vcc, v1, v4
	v_addc_co_u32_e32 v2, vcc, 0, v2, vcc
	v_add_co_u32_e32 v1, vcc, v1, v5
	v_addc_co_u32_e32 v2, vcc, 0, v2, vcc
	v_add_co_u32_e32 v1, vcc, v1, v6
	v_addc_co_u32_e32 v2, vcc, 0, v2, vcc
	v_add_co_u32_e32 v1, vcc, v1, v7
	v_addc_co_u32_e32 v2, vcc, 0, v2, vcc
	v_add_co_u32_e32 v1, vcc, v1, v8
	v_addc_co_u32_e32 v2, vcc, 0, v2, vcc
	v_add_co_u32_e32 v1, vcc, v1, v9
	v_addc_co_u32_e32 v2, vcc, 0, v2, vcc
	v_add_co_u32_e32 v1, vcc, v1, v10
	v_addc_co_u32_e32 v2, vcc, 0, v2, vcc
	s_add_i32 s12, s12, 32
	v_add_co_u32_e32 v1, vcc, v1, v11
	s_cmp_eq_u32 s10, s11
	v_addc_co_u32_e32 v2, vcc, 0, v2, vcc
	s_cbranch_scc0 .LBB43_72
; %bb.73:                               ;   in Loop: Header=BB43_70 Depth=1
	s_mov_b32 s11, s10
.LBB43_74:                              ;   in Loop: Header=BB43_70 Depth=1
	s_andn2_b64 vcc, exec, s[6:7]
	s_cbranch_vccnz .LBB43_69
; %bb.75:                               ;   in Loop: Header=BB43_70 Depth=1
	s_lshl_b32 s11, s11, 2
	s_add_i32 s11, s11, 0
	s_mov_b32 s12, s9
.LBB43_76:                              ;   Parent Loop BB43_70 Depth=1
                                        ; =>  This Inner Loop Header: Depth=2
	v_mov_b32_e32 v4, s11
	ds_read_b32 v4, v4
	s_add_i32 s11, s11, 4
	s_add_i32 s12, s12, -1
	s_cmp_lg_u32 s12, 0
	s_waitcnt lgkmcnt(0)
	v_cmp_gt_i32_e32 vcc, v3, v4
	v_cndmask_b32_e64 v4, 0, 1, vcc
	v_add_co_u32_e32 v1, vcc, v1, v4
	v_addc_co_u32_e32 v2, vcc, 0, v2, vcc
	s_cbranch_scc1 .LBB43_76
	s_branch .LBB43_69
.LBB43_77:
	s_endpgm
	.section	.rodata,"a",@progbits
	.p2align	6, 0x0
	.amdhsa_kernel _ZN9rocsparseL35csrgemm_symbolic_fill_block_per_rowILj1024ELj64ELj32768ELj137ELj64EliEEvT5_PKS1_S3_PKT4_S3_S6_S3_S6_S3_S6_PS1_21rocsparse_index_base_S8_S8_S8_bb
		.amdhsa_group_segment_fixed_size 0
		.amdhsa_private_segment_fixed_size 0
		.amdhsa_kernarg_size 108
		.amdhsa_user_sgpr_count 6
		.amdhsa_user_sgpr_private_segment_buffer 1
		.amdhsa_user_sgpr_dispatch_ptr 0
		.amdhsa_user_sgpr_queue_ptr 0
		.amdhsa_user_sgpr_kernarg_segment_ptr 1
		.amdhsa_user_sgpr_dispatch_id 0
		.amdhsa_user_sgpr_flat_scratch_init 0
		.amdhsa_user_sgpr_private_segment_size 0
		.amdhsa_uses_dynamic_stack 0
		.amdhsa_system_sgpr_private_segment_wavefront_offset 0
		.amdhsa_system_sgpr_workgroup_id_x 1
		.amdhsa_system_sgpr_workgroup_id_y 0
		.amdhsa_system_sgpr_workgroup_id_z 0
		.amdhsa_system_sgpr_workgroup_info 0
		.amdhsa_system_vgpr_workitem_id 0
		.amdhsa_next_free_vgpr 18
		.amdhsa_next_free_sgpr 61
		.amdhsa_reserve_vcc 1
		.amdhsa_reserve_flat_scratch 0
		.amdhsa_float_round_mode_32 0
		.amdhsa_float_round_mode_16_64 0
		.amdhsa_float_denorm_mode_32 3
		.amdhsa_float_denorm_mode_16_64 3
		.amdhsa_dx10_clamp 1
		.amdhsa_ieee_mode 1
		.amdhsa_fp16_overflow 0
		.amdhsa_exception_fp_ieee_invalid_op 0
		.amdhsa_exception_fp_denorm_src 0
		.amdhsa_exception_fp_ieee_div_zero 0
		.amdhsa_exception_fp_ieee_overflow 0
		.amdhsa_exception_fp_ieee_underflow 0
		.amdhsa_exception_fp_ieee_inexact 0
		.amdhsa_exception_int_div_zero 0
	.end_amdhsa_kernel
	.section	.text._ZN9rocsparseL35csrgemm_symbolic_fill_block_per_rowILj1024ELj64ELj32768ELj137ELj64EliEEvT5_PKS1_S3_PKT4_S3_S6_S3_S6_S3_S6_PS1_21rocsparse_index_base_S8_S8_S8_bb,"axG",@progbits,_ZN9rocsparseL35csrgemm_symbolic_fill_block_per_rowILj1024ELj64ELj32768ELj137ELj64EliEEvT5_PKS1_S3_PKT4_S3_S6_S3_S6_S3_S6_PS1_21rocsparse_index_base_S8_S8_S8_bb,comdat
.Lfunc_end43:
	.size	_ZN9rocsparseL35csrgemm_symbolic_fill_block_per_rowILj1024ELj64ELj32768ELj137ELj64EliEEvT5_PKS1_S3_PKT4_S3_S6_S3_S6_S3_S6_PS1_21rocsparse_index_base_S8_S8_S8_bb, .Lfunc_end43-_ZN9rocsparseL35csrgemm_symbolic_fill_block_per_rowILj1024ELj64ELj32768ELj137ELj64EliEEvT5_PKS1_S3_PKT4_S3_S6_S3_S6_S3_S6_PS1_21rocsparse_index_base_S8_S8_S8_bb
                                        ; -- End function
	.set _ZN9rocsparseL35csrgemm_symbolic_fill_block_per_rowILj1024ELj64ELj32768ELj137ELj64EliEEvT5_PKS1_S3_PKT4_S3_S6_S3_S6_S3_S6_PS1_21rocsparse_index_base_S8_S8_S8_bb.num_vgpr, 18
	.set _ZN9rocsparseL35csrgemm_symbolic_fill_block_per_rowILj1024ELj64ELj32768ELj137ELj64EliEEvT5_PKS1_S3_PKT4_S3_S6_S3_S6_S3_S6_PS1_21rocsparse_index_base_S8_S8_S8_bb.num_agpr, 0
	.set _ZN9rocsparseL35csrgemm_symbolic_fill_block_per_rowILj1024ELj64ELj32768ELj137ELj64EliEEvT5_PKS1_S3_PKT4_S3_S6_S3_S6_S3_S6_PS1_21rocsparse_index_base_S8_S8_S8_bb.numbered_sgpr, 61
	.set _ZN9rocsparseL35csrgemm_symbolic_fill_block_per_rowILj1024ELj64ELj32768ELj137ELj64EliEEvT5_PKS1_S3_PKT4_S3_S6_S3_S6_S3_S6_PS1_21rocsparse_index_base_S8_S8_S8_bb.num_named_barrier, 0
	.set _ZN9rocsparseL35csrgemm_symbolic_fill_block_per_rowILj1024ELj64ELj32768ELj137ELj64EliEEvT5_PKS1_S3_PKT4_S3_S6_S3_S6_S3_S6_PS1_21rocsparse_index_base_S8_S8_S8_bb.private_seg_size, 0
	.set _ZN9rocsparseL35csrgemm_symbolic_fill_block_per_rowILj1024ELj64ELj32768ELj137ELj64EliEEvT5_PKS1_S3_PKT4_S3_S6_S3_S6_S3_S6_PS1_21rocsparse_index_base_S8_S8_S8_bb.uses_vcc, 1
	.set _ZN9rocsparseL35csrgemm_symbolic_fill_block_per_rowILj1024ELj64ELj32768ELj137ELj64EliEEvT5_PKS1_S3_PKT4_S3_S6_S3_S6_S3_S6_PS1_21rocsparse_index_base_S8_S8_S8_bb.uses_flat_scratch, 0
	.set _ZN9rocsparseL35csrgemm_symbolic_fill_block_per_rowILj1024ELj64ELj32768ELj137ELj64EliEEvT5_PKS1_S3_PKT4_S3_S6_S3_S6_S3_S6_PS1_21rocsparse_index_base_S8_S8_S8_bb.has_dyn_sized_stack, 0
	.set _ZN9rocsparseL35csrgemm_symbolic_fill_block_per_rowILj1024ELj64ELj32768ELj137ELj64EliEEvT5_PKS1_S3_PKT4_S3_S6_S3_S6_S3_S6_PS1_21rocsparse_index_base_S8_S8_S8_bb.has_recursion, 0
	.set _ZN9rocsparseL35csrgemm_symbolic_fill_block_per_rowILj1024ELj64ELj32768ELj137ELj64EliEEvT5_PKS1_S3_PKT4_S3_S6_S3_S6_S3_S6_PS1_21rocsparse_index_base_S8_S8_S8_bb.has_indirect_call, 0
	.section	.AMDGPU.csdata,"",@progbits
; Kernel info:
; codeLenInByte = 2804
; TotalNumSgprs: 65
; NumVgprs: 18
; ScratchSize: 0
; MemoryBound: 0
; FloatMode: 240
; IeeeMode: 1
; LDSByteSize: 0 bytes/workgroup (compile time only)
; SGPRBlocks: 8
; VGPRBlocks: 4
; NumSGPRsForWavesPerEU: 65
; NumVGPRsForWavesPerEU: 18
; Occupancy: 10
; WaveLimiterHint : 1
; COMPUTE_PGM_RSRC2:SCRATCH_EN: 0
; COMPUTE_PGM_RSRC2:USER_SGPR: 6
; COMPUTE_PGM_RSRC2:TRAP_HANDLER: 0
; COMPUTE_PGM_RSRC2:TGID_X_EN: 1
; COMPUTE_PGM_RSRC2:TGID_Y_EN: 0
; COMPUTE_PGM_RSRC2:TGID_Z_EN: 0
; COMPUTE_PGM_RSRC2:TIDIG_COMP_CNT: 0
	.section	.text._ZN9rocsparseL45csrgemm_symbolic_fill_block_per_row_multipassILj512ELj16ELj2048ELj32EliEEvT4_PKS1_S3_PKT3_S3_S6_S3_S6_S3_S6_PS1_PS4_21rocsparse_index_base_S9_S9_S9_bb,"axG",@progbits,_ZN9rocsparseL45csrgemm_symbolic_fill_block_per_row_multipassILj512ELj16ELj2048ELj32EliEEvT4_PKS1_S3_PKT3_S3_S6_S3_S6_S3_S6_PS1_PS4_21rocsparse_index_base_S9_S9_S9_bb,comdat
	.globl	_ZN9rocsparseL45csrgemm_symbolic_fill_block_per_row_multipassILj512ELj16ELj2048ELj32EliEEvT4_PKS1_S3_PKT3_S3_S6_S3_S6_S3_S6_PS1_PS4_21rocsparse_index_base_S9_S9_S9_bb ; -- Begin function _ZN9rocsparseL45csrgemm_symbolic_fill_block_per_row_multipassILj512ELj16ELj2048ELj32EliEEvT4_PKS1_S3_PKT3_S3_S6_S3_S6_S3_S6_PS1_PS4_21rocsparse_index_base_S9_S9_S9_bb
	.p2align	8
	.type	_ZN9rocsparseL45csrgemm_symbolic_fill_block_per_row_multipassILj512ELj16ELj2048ELj32EliEEvT4_PKS1_S3_PKT3_S3_S6_S3_S6_S3_S6_PS1_PS4_21rocsparse_index_base_S9_S9_S9_bb,@function
_ZN9rocsparseL45csrgemm_symbolic_fill_block_per_row_multipassILj512ELj16ELj2048ELj32EliEEvT4_PKS1_S3_PKT3_S3_S6_S3_S6_S3_S6_PS1_PS4_21rocsparse_index_base_S9_S9_S9_bb: ; @_ZN9rocsparseL45csrgemm_symbolic_fill_block_per_row_multipassILj512ELj16ELj2048ELj32EliEEvT4_PKS1_S3_PKT3_S3_S6_S3_S6_S3_S6_PS1_PS4_21rocsparse_index_base_S9_S9_S9_bb
; %bb.0:
	s_load_dwordx4 s[0:3], s[4:5], 0x8
	s_load_dword s7, s[4:5], 0x70
	s_load_dwordx2 s[10:11], s[4:5], 0x18
	s_mov_b64 s[42:43], 0
	s_waitcnt lgkmcnt(0)
	s_load_dword s12, s[0:1], 0x0
	s_load_dwordx4 s[60:63], s[4:5], 0x60
	s_bitcmp1_b32 s7, 0
	s_cselect_b64 s[8:9], -1, 0
	s_mov_b32 s1, 0
	s_waitcnt lgkmcnt(0)
	s_add_i32 s0, s12, s6
	s_lshl_b64 s[0:1], s[0:1], 2
	s_add_u32 s0, s2, s0
	s_addc_u32 s1, s3, s1
	s_load_dword s0, s[0:1], 0x0
	s_bitcmp0_b32 s7, 0
	s_mov_b64 s[2:3], 0
	s_cbranch_scc0 .LBB44_3
; %bb.1:
	s_andn2_b64 vcc, exec, s[8:9]
	s_cbranch_vccz .LBB44_4
.LBB44_2:
	s_load_dword s33, s[4:5], 0x0
	s_waitcnt lgkmcnt(0)
	s_cmp_lt_i32 s33, 1
	s_cbranch_scc0 .LBB44_5
	s_branch .LBB44_64
.LBB44_3:
	s_waitcnt lgkmcnt(0)
	s_ashr_i32 s1, s0, 31
	s_lshl_b64 s[2:3], s[0:1], 3
	s_add_u32 s2, s10, s2
	s_addc_u32 s3, s11, s3
	s_load_dwordx2 s[2:3], s[2:3], 0x0
	s_waitcnt lgkmcnt(0)
	s_sub_u32 s2, s2, s60
	s_subb_u32 s3, s3, 0
	s_andn2_b64 vcc, exec, s[8:9]
	s_cbranch_vccnz .LBB44_2
.LBB44_4:
	s_waitcnt lgkmcnt(0)
	s_ashr_i32 s1, s0, 31
	s_lshl_b64 s[12:13], s[0:1], 3
	s_add_u32 s10, s10, s12
	s_addc_u32 s11, s11, s13
	s_load_dwordx2 s[10:11], s[10:11], 0x8
	s_waitcnt lgkmcnt(0)
	s_sub_u32 s42, s10, s60
	s_subb_u32 s43, s11, 0
	s_load_dword s33, s[4:5], 0x0
	s_waitcnt lgkmcnt(0)
	s_cmp_lt_i32 s33, 1
	s_cbranch_scc1 .LBB44_64
.LBB44_5:
	s_load_dwordx8 s[44:51], s[4:5], 0x40
	s_bitcmp1_b32 s7, 8
	s_cselect_b64 s[64:65], -1, 0
	s_ashr_i32 s1, s0, 31
	s_lshl_b64 s[6:7], s[0:1], 3
	s_waitcnt lgkmcnt(0)
	s_add_u32 s0, s46, s6
	s_addc_u32 s1, s47, s7
	s_load_dwordx2 s[10:11], s[0:1], 0x0
	s_load_dwordx8 s[52:59], s[4:5], 0x20
	v_lshrrev_b32_e32 v1, 4, v0
	v_mov_b32_e32 v2, s3
	v_add_co_u32_e32 v1, vcc, s2, v1
	s_waitcnt lgkmcnt(0)
	s_sub_u32 s28, s10, s62
	v_addc_co_u32_e32 v2, vcc, 0, v2, vcc
	v_mbcnt_lo_u32_b32 v3, -1, 0
	s_subb_u32 s29, s11, 0
	v_cmp_gt_i64_e32 vcc, s[42:43], v[1:2]
	v_subrev_co_u32_e64 v23, s[4:5], s63, v0
	v_mbcnt_hi_u32_b32 v3, -1, v3
	v_lshrrev_b32_e32 v5, 3, v0
	s_add_u32 s46, s58, s6
	v_subb_co_u32_e64 v24, s[4:5], 0, 0, s[4:5]
	v_sub_u32_e32 v3, 63, v3
	v_and_b32_e32 v25, 60, v5
	v_mov_b32_e32 v5, s28
	v_and_b32_e32 v21, 15, v0
	s_addc_u32 s47, s59, s7
	v_lshrrev_b64 v[3:4], v3, -1
	s_movk_i32 s4, 0x1ff
	s_and_b64 s[58:59], s[8:9], vcc
	s_movk_i32 s6, 0x60
	s_movk_i32 s8, 0x80
	;; [unrolled: 1-line block ×11, first 2 shown]
	v_mov_b32_e32 v6, s29
	s_movk_i32 s28, 0x1c0
	s_movk_i32 s30, 0x1e0
	v_cmp_eq_u32_e64 s[0:1], 0, v0
	v_mov_b32_e32 v22, 0
	s_mov_b32 s84, s61
	v_cmp_eq_u32_e64 s[2:3], 15, v21
	s_mov_b32 s85, s63
	v_cmp_eq_u32_e64 s[4:5], s4, v0
	v_cmp_gt_u32_e64 s[6:7], s6, v0
	v_cmp_gt_u32_e64 s[8:9], s8, v0
	;; [unrolled: 1-line block ×13, first 2 shown]
	v_mov_b32_e32 v28, 0x800
	v_mov_b32_e32 v26, 1
	;; [unrolled: 1-line block ×3, first 2 shown]
	s_movk_i32 s86, 0x5ff
	v_cmp_gt_u32_e64 s[34:35], 32, v0
	v_cmp_gt_u32_e64 s[36:37], 64, v0
	s_mov_b64 s[66:67], -1
	s_branch .LBB44_7
.LBB44_6:                               ;   in Loop: Header=BB44_7 Depth=1
	s_or_b64 exec, exec, s[38:39]
	ds_read_b32 v27, v22 offset:10240
	s_waitcnt lgkmcnt(0)
	s_barrier
	v_cmp_le_i32_e32 vcc, s33, v27
	v_add_u32_e32 v28, 0x800, v27
	s_cbranch_vccnz .LBB44_64
.LBB44_7:                               ; =>This Loop Header: Depth=1
                                        ;     Child Loop BB44_16 Depth 2
                                        ;       Child Loop BB44_22 Depth 3
                                        ;     Child Loop BB44_43 Depth 2
                                        ;     Child Loop BB44_55 Depth 2
	;; [unrolled: 1-line block ×3, first 2 shown]
	s_and_saveexec_b64 s[38:39], s[66:67]
	s_cbranch_execnz .LBB44_34
; %bb.8:                                ;   in Loop: Header=BB44_7 Depth=1
	s_or_b64 exec, exec, s[38:39]
	s_and_saveexec_b64 s[38:39], s[66:67]
	s_cbranch_execnz .LBB44_35
.LBB44_9:                               ;   in Loop: Header=BB44_7 Depth=1
	s_or_b64 exec, exec, s[38:39]
	s_and_saveexec_b64 s[38:39], s[66:67]
	s_cbranch_execnz .LBB44_36
.LBB44_10:                              ;   in Loop: Header=BB44_7 Depth=1
	s_or_b64 exec, exec, s[38:39]
	s_and_saveexec_b64 s[38:39], s[66:67]
	s_cbranch_execnz .LBB44_37
.LBB44_11:                              ;   in Loop: Header=BB44_7 Depth=1
	s_or_b64 exec, exec, s[38:39]
	s_and_saveexec_b64 s[38:39], s[0:1]
.LBB44_12:                              ;   in Loop: Header=BB44_7 Depth=1
	v_mov_b32_e32 v7, s33
	ds_write_b32 v22, v7 offset:10240
.LBB44_13:                              ;   in Loop: Header=BB44_7 Depth=1
	s_or_b64 exec, exec, s[38:39]
	v_mov_b32_e32 v29, s33
	s_waitcnt lgkmcnt(0)
	s_barrier
	s_and_saveexec_b64 s[68:69], s[58:59]
	s_cbranch_execz .LBB44_39
; %bb.14:                               ;   in Loop: Header=BB44_7 Depth=1
	v_mov_b32_e32 v8, v2
	s_mov_b64 s[70:71], 0
	v_cmp_ne_u32_e64 s[38:39], 0, v27
	v_mov_b32_e32 v29, s33
	v_mov_b32_e32 v7, v1
	s_branch .LBB44_16
.LBB44_15:                              ;   in Loop: Header=BB44_16 Depth=2
	s_or_b64 exec, exec, s[40:41]
	v_add_co_u32_e32 v7, vcc, 32, v7
	v_addc_co_u32_e32 v8, vcc, 0, v8, vcc
	v_cmp_le_i64_e32 vcc, s[42:43], v[7:8]
	s_or_b64 s[70:71], vcc, s[70:71]
	s_andn2_b64 exec, exec, s[70:71]
	s_cbranch_execz .LBB44_38
.LBB44_16:                              ;   Parent Loop BB44_7 Depth=1
                                        ; =>  This Loop Header: Depth=2
                                        ;       Child Loop BB44_22 Depth 3
	v_lshlrev_b64 v[9:10], 2, v[7:8]
	v_mov_b32_e32 v11, s53
	v_add_co_u32_e32 v9, vcc, s52, v9
	v_addc_co_u32_e32 v10, vcc, v11, v10, vcc
	global_load_dword v11, v[9:10], off
	v_lshlrev_b64 v[9:10], 3, v[7:8]
	s_and_b64 vcc, exec, s[38:39]
	s_waitcnt vmcnt(0)
	v_subrev_u32_e32 v11, s60, v11
	v_ashrrev_i32_e32 v12, 31, v11
	s_cbranch_vccz .LBB44_33
; %bb.17:                               ;   in Loop: Header=BB44_16 Depth=2
	v_mov_b32_e32 v14, s51
	v_add_co_u32_e32 v13, vcc, s50, v9
	v_addc_co_u32_e32 v14, vcc, v14, v10, vcc
	global_load_dwordx2 v[15:16], v[13:14], off
	s_cbranch_execnz .LBB44_19
.LBB44_18:                              ;   in Loop: Header=BB44_16 Depth=2
	v_lshlrev_b64 v[13:14], 3, v[11:12]
	s_waitcnt vmcnt(0)
	v_mov_b32_e32 v15, s55
	v_add_co_u32_e32 v13, vcc, s54, v13
	v_addc_co_u32_e32 v14, vcc, v15, v14, vcc
	global_load_dwordx2 v[13:14], v[13:14], off
	s_waitcnt vmcnt(0)
	v_subrev_co_u32_e32 v15, vcc, s84, v13
	v_subbrev_co_u32_e32 v16, vcc, 0, v14, vcc
.LBB44_19:                              ;   in Loop: Header=BB44_16 Depth=2
	v_lshlrev_b64 v[11:12], 3, v[11:12]
	v_mov_b32_e32 v13, s55
	v_add_co_u32_e32 v11, vcc, s54, v11
	v_addc_co_u32_e32 v12, vcc, v13, v12, vcc
	global_load_dwordx2 v[11:12], v[11:12], off offset:8
	s_waitcnt vmcnt(0)
	v_subrev_co_u32_e32 v13, vcc, s84, v11
	v_subbrev_co_u32_e32 v14, vcc, 0, v12, vcc
	v_add_co_u32_e32 v11, vcc, v15, v21
	v_addc_co_u32_e32 v12, vcc, 0, v16, vcc
	v_cmp_lt_i64_e32 vcc, v[11:12], v[13:14]
	s_and_saveexec_b64 s[72:73], vcc
	s_cbranch_execz .LBB44_31
; %bb.20:                               ;   in Loop: Header=BB44_16 Depth=2
	v_lshlrev_b64 v[15:16], 2, v[11:12]
	v_mov_b32_e32 v17, s57
	v_add_co_u32_e32 v15, vcc, s56, v15
	v_mov_b32_e32 v20, v12
	v_addc_co_u32_e32 v16, vcc, v17, v16, vcc
	s_mov_b64 s[76:77], 0
	v_mov_b32_e32 v19, v11
                                        ; implicit-def: $sgpr74_sgpr75
                                        ; implicit-def: $sgpr78_sgpr79
	s_branch .LBB44_22
.LBB44_21:                              ;   in Loop: Header=BB44_22 Depth=3
	s_or_b64 exec, exec, s[80:81]
	s_and_b64 s[40:41], exec, s[82:83]
	s_or_b64 s[76:77], s[40:41], s[76:77]
	s_andn2_b64 s[40:41], s[74:75], exec
	s_and_b64 s[74:75], s[78:79], exec
	s_or_b64 s[74:75], s[40:41], s[74:75]
	s_andn2_b64 exec, exec, s[76:77]
	s_cbranch_execz .LBB44_28
.LBB44_22:                              ;   Parent Loop BB44_7 Depth=1
                                        ;     Parent Loop BB44_16 Depth=2
                                        ; =>    This Inner Loop Header: Depth=3
	global_load_dword v30, v[15:16], off
	v_mov_b32_e32 v17, v19
	v_mov_b32_e32 v18, v20
	s_waitcnt vmcnt(0)
	v_subrev_u32_e32 v30, s61, v30
	v_cmp_lt_i32_e32 vcc, v30, v27
	v_cmp_ge_i32_e64 s[40:41], v30, v28
	s_or_b64 s[80:81], vcc, s[40:41]
	s_mov_b64 s[40:41], 0
	s_and_saveexec_b64 s[82:83], s[80:81]
	s_xor_b64 s[80:81], exec, s[82:83]
; %bb.23:                               ;   in Loop: Header=BB44_22 Depth=3
	v_cmp_lt_i32_e32 vcc, v30, v28
	s_and_b64 s[40:41], vcc, exec
; %bb.24:                               ;   in Loop: Header=BB44_22 Depth=3
	s_andn2_saveexec_b64 s[80:81], s[80:81]
; %bb.25:                               ;   in Loop: Header=BB44_22 Depth=3
	v_sub_u32_e32 v19, v30, v27
	s_or_b64 s[40:41], s[40:41], exec
	ds_write_b8 v19, v26 offset:8192
; %bb.26:                               ;   in Loop: Header=BB44_22 Depth=3
	s_or_b64 exec, exec, s[80:81]
	s_mov_b64 s[82:83], -1
	s_or_b64 s[78:79], s[78:79], exec
                                        ; implicit-def: $vgpr19_vgpr20
	s_and_saveexec_b64 s[80:81], s[40:41]
	s_cbranch_execz .LBB44_21
; %bb.27:                               ;   in Loop: Header=BB44_22 Depth=3
	v_add_co_u32_e32 v19, vcc, 16, v17
	v_addc_co_u32_e32 v20, vcc, 0, v18, vcc
	v_add_co_u32_e32 v15, vcc, 64, v15
	v_addc_co_u32_e32 v16, vcc, 0, v16, vcc
	v_cmp_ge_i64_e32 vcc, v[19:20], v[13:14]
	s_andn2_b64 s[78:79], s[78:79], exec
	s_orn2_b64 s[82:83], vcc, exec
	s_branch .LBB44_21
.LBB44_28:                              ;   in Loop: Header=BB44_16 Depth=2
	s_or_b64 exec, exec, s[76:77]
	s_and_saveexec_b64 s[40:41], s[74:75]
	s_xor_b64 s[40:41], exec, s[40:41]
; %bb.29:                               ;   in Loop: Header=BB44_16 Depth=2
	v_mov_b32_e32 v11, v17
	v_min_i32_e32 v29, v30, v29
	v_mov_b32_e32 v12, v18
; %bb.30:                               ;   in Loop: Header=BB44_16 Depth=2
	s_or_b64 exec, exec, s[40:41]
.LBB44_31:                              ;   in Loop: Header=BB44_16 Depth=2
	s_or_b64 exec, exec, s[72:73]
	v_mov_b32_dpp v13, v11 row_shr:1 row_mask:0xf bank_mask:0xf
	v_mov_b32_dpp v14, v12 row_shr:1 row_mask:0xf bank_mask:0xf
	v_cmp_lt_i64_e32 vcc, v[13:14], v[11:12]
	v_cndmask_b32_e32 v12, v12, v14, vcc
	v_cndmask_b32_e32 v11, v11, v13, vcc
	s_nop 0
	v_mov_b32_dpp v14, v12 row_shr:2 row_mask:0xf bank_mask:0xf
	v_mov_b32_dpp v13, v11 row_shr:2 row_mask:0xf bank_mask:0xf
	v_cmp_lt_i64_e32 vcc, v[13:14], v[11:12]
	v_cndmask_b32_e32 v12, v12, v14, vcc
	v_cndmask_b32_e32 v11, v11, v13, vcc
	s_nop 0
	;; [unrolled: 6-line block ×3, first 2 shown]
	v_mov_b32_dpp v15, v12 row_shr:8 row_mask:0xf bank_mask:0xc
	v_mov_b32_dpp v13, v11 row_shr:8 row_mask:0xf bank_mask:0xc
	s_and_saveexec_b64 s[40:41], s[2:3]
	s_cbranch_execz .LBB44_15
; %bb.32:                               ;   in Loop: Header=BB44_16 Depth=2
	v_mov_b32_e32 v14, v15
	v_cmp_lt_i64_e32 vcc, v[13:14], v[11:12]
	v_cndmask_b32_e32 v12, v12, v15, vcc
	v_cndmask_b32_e32 v11, v11, v13, vcc
	v_mov_b32_e32 v13, s51
	v_add_co_u32_e32 v9, vcc, s50, v9
	v_addc_co_u32_e32 v10, vcc, v13, v10, vcc
	global_store_dwordx2 v[9:10], v[11:12], off
	s_branch .LBB44_15
.LBB44_33:                              ;   in Loop: Header=BB44_16 Depth=2
                                        ; implicit-def: $vgpr15_vgpr16
	s_branch .LBB44_18
.LBB44_34:                              ;   in Loop: Header=BB44_7 Depth=1
	ds_write_b8 v0, v22 offset:8192
	s_or_b64 exec, exec, s[38:39]
	s_and_saveexec_b64 s[38:39], s[66:67]
	s_cbranch_execz .LBB44_9
.LBB44_35:                              ;   in Loop: Header=BB44_7 Depth=1
	ds_write_b8 v0, v22 offset:8704
	s_or_b64 exec, exec, s[38:39]
	s_and_saveexec_b64 s[38:39], s[66:67]
	s_cbranch_execz .LBB44_10
.LBB44_36:                              ;   in Loop: Header=BB44_7 Depth=1
	ds_write_b8 v0, v22 offset:9216
	s_or_b64 exec, exec, s[38:39]
	s_and_saveexec_b64 s[38:39], s[66:67]
	s_cbranch_execz .LBB44_11
.LBB44_37:                              ;   in Loop: Header=BB44_7 Depth=1
	ds_write_b8 v0, v22 offset:9728
	s_or_b64 exec, exec, s[38:39]
	s_and_saveexec_b64 s[38:39], s[0:1]
	s_cbranch_execnz .LBB44_12
	s_branch .LBB44_13
.LBB44_38:                              ;   in Loop: Header=BB44_7 Depth=1
	s_or_b64 exec, exec, s[70:71]
.LBB44_39:                              ;   in Loop: Header=BB44_7 Depth=1
	s_or_b64 exec, exec, s[68:69]
	s_andn2_b64 vcc, exec, s[64:65]
	s_cbranch_vccnz .LBB44_53
; %bb.40:                               ;   in Loop: Header=BB44_7 Depth=1
	s_load_dwordx4 s[72:75], s[46:47], 0x0
	s_waitcnt lgkmcnt(0)
	s_sub_u32 s68, s74, s85
	v_mov_b32_e32 v8, s73
	v_add_co_u32_e32 v7, vcc, s72, v23
	s_subb_u32 s69, s75, 0
	v_addc_co_u32_e32 v8, vcc, v8, v24, vcc
	v_cmp_gt_i64_e32 vcc, s[68:69], v[7:8]
	s_and_saveexec_b64 s[40:41], vcc
	s_cbranch_execz .LBB44_52
; %bb.41:                               ;   in Loop: Header=BB44_7 Depth=1
	v_lshlrev_b64 v[9:10], 2, v[7:8]
	v_mov_b32_e32 v11, s45
	v_add_co_u32_e32 v9, vcc, s44, v9
	v_addc_co_u32_e32 v10, vcc, v11, v10, vcc
	s_mov_b64 s[70:71], 0
                                        ; implicit-def: $sgpr72_sgpr73
                                        ; implicit-def: $sgpr74_sgpr75
	s_branch .LBB44_43
.LBB44_42:                              ;   in Loop: Header=BB44_43 Depth=2
	s_or_b64 exec, exec, s[76:77]
	s_and_b64 s[38:39], exec, s[78:79]
	s_or_b64 s[70:71], s[38:39], s[70:71]
	s_andn2_b64 s[38:39], s[72:73], exec
	s_and_b64 s[72:73], s[74:75], exec
	s_or_b64 s[72:73], s[38:39], s[72:73]
	s_andn2_b64 exec, exec, s[70:71]
	s_cbranch_execz .LBB44_49
.LBB44_43:                              ;   Parent Loop BB44_7 Depth=1
                                        ; =>  This Inner Loop Header: Depth=2
	global_load_dword v11, v[9:10], off
	s_waitcnt vmcnt(0)
	v_subrev_u32_e32 v11, s63, v11
	v_cmp_lt_i32_e32 vcc, v11, v27
	v_cmp_ge_i32_e64 s[38:39], v11, v28
	s_or_b64 s[76:77], vcc, s[38:39]
	s_mov_b64 s[38:39], 0
	s_and_saveexec_b64 s[78:79], s[76:77]
	s_xor_b64 s[76:77], exec, s[78:79]
; %bb.44:                               ;   in Loop: Header=BB44_43 Depth=2
	v_cmp_lt_i32_e32 vcc, v11, v28
	s_and_b64 s[38:39], vcc, exec
; %bb.45:                               ;   in Loop: Header=BB44_43 Depth=2
	s_andn2_saveexec_b64 s[76:77], s[76:77]
; %bb.46:                               ;   in Loop: Header=BB44_43 Depth=2
	v_sub_u32_e32 v12, v11, v27
	s_or_b64 s[38:39], s[38:39], exec
	ds_write_b8 v12, v26 offset:8192
; %bb.47:                               ;   in Loop: Header=BB44_43 Depth=2
	s_or_b64 exec, exec, s[76:77]
	s_mov_b64 s[78:79], -1
	s_or_b64 s[74:75], s[74:75], exec
	s_and_saveexec_b64 s[76:77], s[38:39]
	s_cbranch_execz .LBB44_42
; %bb.48:                               ;   in Loop: Header=BB44_43 Depth=2
	v_add_co_u32_e32 v7, vcc, 0x200, v7
	v_addc_co_u32_e32 v8, vcc, 0, v8, vcc
	v_add_co_u32_e32 v9, vcc, 0x800, v9
	v_addc_co_u32_e32 v10, vcc, 0, v10, vcc
	v_cmp_le_i64_e32 vcc, s[68:69], v[7:8]
	s_andn2_b64 s[74:75], s[74:75], exec
	s_orn2_b64 s[78:79], vcc, exec
	s_branch .LBB44_42
.LBB44_49:                              ;   in Loop: Header=BB44_7 Depth=1
	s_or_b64 exec, exec, s[70:71]
	s_and_saveexec_b64 s[38:39], s[72:73]
	s_xor_b64 s[38:39], exec, s[38:39]
; %bb.50:                               ;   in Loop: Header=BB44_7 Depth=1
	v_min_i32_e32 v29, v11, v29
; %bb.51:                               ;   in Loop: Header=BB44_7 Depth=1
	s_or_b64 exec, exec, s[38:39]
.LBB44_52:                              ;   in Loop: Header=BB44_7 Depth=1
	s_or_b64 exec, exec, s[40:41]
.LBB44_53:                              ;   in Loop: Header=BB44_7 Depth=1
	v_mov_b32_dpp v7, v29 row_shr:1 row_mask:0xf bank_mask:0xf
	v_min_i32_e32 v7, v7, v29
	s_nop 1
	v_mov_b32_dpp v8, v7 row_shr:2 row_mask:0xf bank_mask:0xf
	v_min_i32_e32 v7, v8, v7
	s_nop 1
	;; [unrolled: 3-line block ×3, first 2 shown]
	v_mov_b32_dpp v8, v7 row_shr:8 row_mask:0xf bank_mask:0xc
	s_and_saveexec_b64 s[38:39], s[2:3]
	s_cbranch_execz .LBB44_58
; %bb.54:                               ;   in Loop: Header=BB44_7 Depth=1
	s_mov_b64 s[40:41], exec
	v_min_i32_e32 v7, v8, v7
	s_brev_b32 s68, -2
.LBB44_55:                              ;   Parent Loop BB44_7 Depth=1
                                        ; =>  This Inner Loop Header: Depth=2
	s_ff1_i32_b64 s69, s[40:41]
	v_readlane_b32 s72, v7, s69
	s_lshl_b64 s[70:71], 1, s69
	s_min_i32 s68, s68, s72
	s_andn2_b64 s[40:41], s[40:41], s[70:71]
	s_cmp_lg_u64 s[40:41], 0
	s_cbranch_scc1 .LBB44_55
; %bb.56:                               ;   in Loop: Header=BB44_7 Depth=1
	v_mbcnt_lo_u32_b32 v7, exec_lo, 0
	v_mbcnt_hi_u32_b32 v7, exec_hi, v7
	v_cmp_eq_u32_e32 vcc, 0, v7
	s_and_saveexec_b64 s[40:41], vcc
	s_xor_b64 s[40:41], exec, s[40:41]
; %bb.57:                               ;   in Loop: Header=BB44_7 Depth=1
	v_mov_b32_e32 v7, s68
	ds_min_i32 v22, v7 offset:10240
.LBB44_58:                              ;   in Loop: Header=BB44_7 Depth=1
	s_or_b64 exec, exec, s[38:39]
	v_add_u32_e32 v9, s62, v27
	s_mov_b64 s[38:39], 0
	v_mov_b32_e32 v10, v0
	s_waitcnt vmcnt(0) lgkmcnt(0)
	s_barrier
	s_branch .LBB44_60
.LBB44_59:                              ;   in Loop: Header=BB44_60 Depth=2
	s_or_b64 exec, exec, s[40:41]
	s_waitcnt vmcnt(0) lgkmcnt(0)
	s_barrier
	ds_read_b32 v7, v22 offset:60
	s_waitcnt lgkmcnt(0)
	v_ashrrev_i32_e32 v8, 31, v7
	v_add_co_u32_e32 v5, vcc, v5, v7
	v_addc_co_u32_e32 v6, vcc, v6, v8, vcc
	v_add_u32_e32 v7, 0x200, v10
	v_cmp_lt_u32_e32 vcc, s86, v10
	s_or_b64 s[38:39], vcc, s[38:39]
	v_mov_b32_e32 v10, v7
	s_andn2_b64 exec, exec, s[38:39]
	s_cbranch_execz .LBB44_6
.LBB44_60:                              ;   Parent Loop BB44_7 Depth=1
                                        ; =>  This Inner Loop Header: Depth=2
	ds_read_u8 v8, v10 offset:8192
	s_waitcnt lgkmcnt(0)
	s_barrier
	v_cmp_ne_u16_e32 vcc, 0, v8
	s_bcnt1_i32_b64 s40, vcc
	v_mov_b32_e32 v11, s40
	ds_write_b32 v25, v11
	s_waitcnt lgkmcnt(0)
	s_barrier
	ds_read_b128 v[11:14], v22
	v_and_b32_e32 v15, vcc_lo, v3
	v_and_b32_e32 v7, vcc_hi, v4
	v_bcnt_u32_b32 v15, v15, 0
	v_bcnt_u32_b32 v7, v7, v15
	ds_read_b128 v[15:18], v22 offset:16
	s_waitcnt lgkmcnt(1)
	v_cndmask_b32_e64 v11, v11, 0, s[34:35]
	v_add_u32_e32 v7, v11, v7
	v_cndmask_b32_e64 v19, v12, 0, s[36:37]
	v_cndmask_b32_e64 v20, v13, 0, s[6:7]
	;; [unrolled: 1-line block ×3, first 2 shown]
	ds_read_b128 v[11:14], v22 offset:32
	ds_read_b96 v[27:29], v22 offset:48
	v_add3_u32 v7, v7, v19, v20
	s_waitcnt lgkmcnt(2)
	v_cndmask_b32_e64 v15, v15, 0, s[10:11]
	v_add3_u32 v7, v7, v30, v15
	v_cndmask_b32_e64 v15, v16, 0, s[12:13]
	v_cndmask_b32_e64 v16, v17, 0, s[14:15]
	v_add3_u32 v7, v7, v15, v16
	v_cndmask_b32_e64 v15, v18, 0, s[16:17]
	s_waitcnt lgkmcnt(1)
	v_cndmask_b32_e64 v11, v11, 0, s[18:19]
	v_add3_u32 v7, v7, v15, v11
	v_cndmask_b32_e64 v11, v12, 0, s[20:21]
	v_cndmask_b32_e64 v12, v13, 0, s[22:23]
	v_add3_u32 v7, v7, v11, v12
	v_cndmask_b32_e64 v11, v14, 0, s[24:25]
	s_waitcnt lgkmcnt(0)
	v_cndmask_b32_e64 v12, v27, 0, s[26:27]
	v_add3_u32 v7, v7, v11, v12
	v_cndmask_b32_e64 v11, v28, 0, s[28:29]
	v_cndmask_b32_e64 v12, v29, 0, s[30:31]
	v_and_b32_e32 v8, 1, v8
	v_add3_u32 v7, v7, v11, v12
	v_cmp_eq_u32_e32 vcc, 1, v8
	s_and_saveexec_b64 s[40:41], vcc
	s_cbranch_execz .LBB44_62
; %bb.61:                               ;   in Loop: Header=BB44_60 Depth=2
	v_lshlrev_b64 v[11:12], 2, v[5:6]
	v_mov_b32_e32 v8, s49
	v_add_co_u32_e32 v14, vcc, s48, v11
	v_addc_co_u32_e32 v15, vcc, v8, v12, vcc
	v_ashrrev_i32_e32 v8, 31, v7
	v_lshlrev_b64 v[11:12], 2, v[7:8]
	v_add_u32_e32 v13, v9, v10
	v_add_co_u32_e32 v11, vcc, v14, v11
	v_addc_co_u32_e32 v12, vcc, v15, v12, vcc
	global_store_dword v[11:12], v13, off offset:-4
.LBB44_62:                              ;   in Loop: Header=BB44_60 Depth=2
	s_or_b64 exec, exec, s[40:41]
	s_and_saveexec_b64 s[40:41], s[4:5]
	s_cbranch_execz .LBB44_59
; %bb.63:                               ;   in Loop: Header=BB44_60 Depth=2
	ds_write_b32 v22, v7 offset:60
	s_branch .LBB44_59
.LBB44_64:
	s_endpgm
	.section	.rodata,"a",@progbits
	.p2align	6, 0x0
	.amdhsa_kernel _ZN9rocsparseL45csrgemm_symbolic_fill_block_per_row_multipassILj512ELj16ELj2048ELj32EliEEvT4_PKS1_S3_PKT3_S3_S6_S3_S6_S3_S6_PS1_PS4_21rocsparse_index_base_S9_S9_S9_bb
		.amdhsa_group_segment_fixed_size 10244
		.amdhsa_private_segment_fixed_size 0
		.amdhsa_kernarg_size 116
		.amdhsa_user_sgpr_count 6
		.amdhsa_user_sgpr_private_segment_buffer 1
		.amdhsa_user_sgpr_dispatch_ptr 0
		.amdhsa_user_sgpr_queue_ptr 0
		.amdhsa_user_sgpr_kernarg_segment_ptr 1
		.amdhsa_user_sgpr_dispatch_id 0
		.amdhsa_user_sgpr_flat_scratch_init 0
		.amdhsa_user_sgpr_private_segment_size 0
		.amdhsa_uses_dynamic_stack 0
		.amdhsa_system_sgpr_private_segment_wavefront_offset 0
		.amdhsa_system_sgpr_workgroup_id_x 1
		.amdhsa_system_sgpr_workgroup_id_y 0
		.amdhsa_system_sgpr_workgroup_id_z 0
		.amdhsa_system_sgpr_workgroup_info 0
		.amdhsa_system_vgpr_workitem_id 0
		.amdhsa_next_free_vgpr 31
		.amdhsa_next_free_sgpr 87
		.amdhsa_reserve_vcc 1
		.amdhsa_reserve_flat_scratch 0
		.amdhsa_float_round_mode_32 0
		.amdhsa_float_round_mode_16_64 0
		.amdhsa_float_denorm_mode_32 3
		.amdhsa_float_denorm_mode_16_64 3
		.amdhsa_dx10_clamp 1
		.amdhsa_ieee_mode 1
		.amdhsa_fp16_overflow 0
		.amdhsa_exception_fp_ieee_invalid_op 0
		.amdhsa_exception_fp_denorm_src 0
		.amdhsa_exception_fp_ieee_div_zero 0
		.amdhsa_exception_fp_ieee_overflow 0
		.amdhsa_exception_fp_ieee_underflow 0
		.amdhsa_exception_fp_ieee_inexact 0
		.amdhsa_exception_int_div_zero 0
	.end_amdhsa_kernel
	.section	.text._ZN9rocsparseL45csrgemm_symbolic_fill_block_per_row_multipassILj512ELj16ELj2048ELj32EliEEvT4_PKS1_S3_PKT3_S3_S6_S3_S6_S3_S6_PS1_PS4_21rocsparse_index_base_S9_S9_S9_bb,"axG",@progbits,_ZN9rocsparseL45csrgemm_symbolic_fill_block_per_row_multipassILj512ELj16ELj2048ELj32EliEEvT4_PKS1_S3_PKT3_S3_S6_S3_S6_S3_S6_PS1_PS4_21rocsparse_index_base_S9_S9_S9_bb,comdat
.Lfunc_end44:
	.size	_ZN9rocsparseL45csrgemm_symbolic_fill_block_per_row_multipassILj512ELj16ELj2048ELj32EliEEvT4_PKS1_S3_PKT3_S3_S6_S3_S6_S3_S6_PS1_PS4_21rocsparse_index_base_S9_S9_S9_bb, .Lfunc_end44-_ZN9rocsparseL45csrgemm_symbolic_fill_block_per_row_multipassILj512ELj16ELj2048ELj32EliEEvT4_PKS1_S3_PKT3_S3_S6_S3_S6_S3_S6_PS1_PS4_21rocsparse_index_base_S9_S9_S9_bb
                                        ; -- End function
	.set _ZN9rocsparseL45csrgemm_symbolic_fill_block_per_row_multipassILj512ELj16ELj2048ELj32EliEEvT4_PKS1_S3_PKT3_S3_S6_S3_S6_S3_S6_PS1_PS4_21rocsparse_index_base_S9_S9_S9_bb.num_vgpr, 31
	.set _ZN9rocsparseL45csrgemm_symbolic_fill_block_per_row_multipassILj512ELj16ELj2048ELj32EliEEvT4_PKS1_S3_PKT3_S3_S6_S3_S6_S3_S6_PS1_PS4_21rocsparse_index_base_S9_S9_S9_bb.num_agpr, 0
	.set _ZN9rocsparseL45csrgemm_symbolic_fill_block_per_row_multipassILj512ELj16ELj2048ELj32EliEEvT4_PKS1_S3_PKT3_S3_S6_S3_S6_S3_S6_PS1_PS4_21rocsparse_index_base_S9_S9_S9_bb.numbered_sgpr, 87
	.set _ZN9rocsparseL45csrgemm_symbolic_fill_block_per_row_multipassILj512ELj16ELj2048ELj32EliEEvT4_PKS1_S3_PKT3_S3_S6_S3_S6_S3_S6_PS1_PS4_21rocsparse_index_base_S9_S9_S9_bb.num_named_barrier, 0
	.set _ZN9rocsparseL45csrgemm_symbolic_fill_block_per_row_multipassILj512ELj16ELj2048ELj32EliEEvT4_PKS1_S3_PKT3_S3_S6_S3_S6_S3_S6_PS1_PS4_21rocsparse_index_base_S9_S9_S9_bb.private_seg_size, 0
	.set _ZN9rocsparseL45csrgemm_symbolic_fill_block_per_row_multipassILj512ELj16ELj2048ELj32EliEEvT4_PKS1_S3_PKT3_S3_S6_S3_S6_S3_S6_PS1_PS4_21rocsparse_index_base_S9_S9_S9_bb.uses_vcc, 1
	.set _ZN9rocsparseL45csrgemm_symbolic_fill_block_per_row_multipassILj512ELj16ELj2048ELj32EliEEvT4_PKS1_S3_PKT3_S3_S6_S3_S6_S3_S6_PS1_PS4_21rocsparse_index_base_S9_S9_S9_bb.uses_flat_scratch, 0
	.set _ZN9rocsparseL45csrgemm_symbolic_fill_block_per_row_multipassILj512ELj16ELj2048ELj32EliEEvT4_PKS1_S3_PKT3_S3_S6_S3_S6_S3_S6_PS1_PS4_21rocsparse_index_base_S9_S9_S9_bb.has_dyn_sized_stack, 0
	.set _ZN9rocsparseL45csrgemm_symbolic_fill_block_per_row_multipassILj512ELj16ELj2048ELj32EliEEvT4_PKS1_S3_PKT3_S3_S6_S3_S6_S3_S6_PS1_PS4_21rocsparse_index_base_S9_S9_S9_bb.has_recursion, 0
	.set _ZN9rocsparseL45csrgemm_symbolic_fill_block_per_row_multipassILj512ELj16ELj2048ELj32EliEEvT4_PKS1_S3_PKT3_S3_S6_S3_S6_S3_S6_PS1_PS4_21rocsparse_index_base_S9_S9_S9_bb.has_indirect_call, 0
	.section	.AMDGPU.csdata,"",@progbits
; Kernel info:
; codeLenInByte = 2392
; TotalNumSgprs: 91
; NumVgprs: 31
; ScratchSize: 0
; MemoryBound: 0
; FloatMode: 240
; IeeeMode: 1
; LDSByteSize: 10244 bytes/workgroup (compile time only)
; SGPRBlocks: 11
; VGPRBlocks: 7
; NumSGPRsForWavesPerEU: 91
; NumVGPRsForWavesPerEU: 31
; Occupancy: 8
; WaveLimiterHint : 1
; COMPUTE_PGM_RSRC2:SCRATCH_EN: 0
; COMPUTE_PGM_RSRC2:USER_SGPR: 6
; COMPUTE_PGM_RSRC2:TRAP_HANDLER: 0
; COMPUTE_PGM_RSRC2:TGID_X_EN: 1
; COMPUTE_PGM_RSRC2:TGID_Y_EN: 0
; COMPUTE_PGM_RSRC2:TGID_Z_EN: 0
; COMPUTE_PGM_RSRC2:TIDIG_COMP_CNT: 0
	.section	.text._ZN9rocsparseL45csrgemm_symbolic_fill_block_per_row_multipassILj512ELj16ELj2048ELj64EliEEvT4_PKS1_S3_PKT3_S3_S6_S3_S6_S3_S6_PS1_PS4_21rocsparse_index_base_S9_S9_S9_bb,"axG",@progbits,_ZN9rocsparseL45csrgemm_symbolic_fill_block_per_row_multipassILj512ELj16ELj2048ELj64EliEEvT4_PKS1_S3_PKT3_S3_S6_S3_S6_S3_S6_PS1_PS4_21rocsparse_index_base_S9_S9_S9_bb,comdat
	.globl	_ZN9rocsparseL45csrgemm_symbolic_fill_block_per_row_multipassILj512ELj16ELj2048ELj64EliEEvT4_PKS1_S3_PKT3_S3_S6_S3_S6_S3_S6_PS1_PS4_21rocsparse_index_base_S9_S9_S9_bb ; -- Begin function _ZN9rocsparseL45csrgemm_symbolic_fill_block_per_row_multipassILj512ELj16ELj2048ELj64EliEEvT4_PKS1_S3_PKT3_S3_S6_S3_S6_S3_S6_PS1_PS4_21rocsparse_index_base_S9_S9_S9_bb
	.p2align	8
	.type	_ZN9rocsparseL45csrgemm_symbolic_fill_block_per_row_multipassILj512ELj16ELj2048ELj64EliEEvT4_PKS1_S3_PKT3_S3_S6_S3_S6_S3_S6_PS1_PS4_21rocsparse_index_base_S9_S9_S9_bb,@function
_ZN9rocsparseL45csrgemm_symbolic_fill_block_per_row_multipassILj512ELj16ELj2048ELj64EliEEvT4_PKS1_S3_PKT3_S3_S6_S3_S6_S3_S6_PS1_PS4_21rocsparse_index_base_S9_S9_S9_bb: ; @_ZN9rocsparseL45csrgemm_symbolic_fill_block_per_row_multipassILj512ELj16ELj2048ELj64EliEEvT4_PKS1_S3_PKT3_S3_S6_S3_S6_S3_S6_PS1_PS4_21rocsparse_index_base_S9_S9_S9_bb
; %bb.0:
	s_load_dwordx4 s[0:3], s[4:5], 0x8
	s_load_dword s7, s[4:5], 0x70
	s_load_dwordx2 s[10:11], s[4:5], 0x18
	s_mov_b64 s[34:35], 0
	s_waitcnt lgkmcnt(0)
	s_load_dword s12, s[0:1], 0x0
	s_load_dwordx4 s[44:47], s[4:5], 0x60
	s_bitcmp1_b32 s7, 0
	s_cselect_b64 s[8:9], -1, 0
	s_mov_b32 s1, 0
	s_waitcnt lgkmcnt(0)
	s_add_i32 s0, s12, s6
	s_lshl_b64 s[0:1], s[0:1], 2
	s_add_u32 s0, s2, s0
	s_addc_u32 s1, s3, s1
	s_load_dword s0, s[0:1], 0x0
	s_bitcmp0_b32 s7, 0
	s_mov_b64 s[2:3], 0
	s_cbranch_scc0 .LBB45_3
; %bb.1:
	s_andn2_b64 vcc, exec, s[8:9]
	s_cbranch_vccz .LBB45_4
.LBB45_2:
	s_load_dword s33, s[4:5], 0x0
	s_waitcnt lgkmcnt(0)
	s_cmp_lt_i32 s33, 1
	s_cbranch_scc0 .LBB45_5
	s_branch .LBB45_64
.LBB45_3:
	s_waitcnt lgkmcnt(0)
	s_ashr_i32 s1, s0, 31
	s_lshl_b64 s[2:3], s[0:1], 3
	s_add_u32 s2, s10, s2
	s_addc_u32 s3, s11, s3
	s_load_dwordx2 s[2:3], s[2:3], 0x0
	s_waitcnt lgkmcnt(0)
	s_sub_u32 s2, s2, s44
	s_subb_u32 s3, s3, 0
	s_andn2_b64 vcc, exec, s[8:9]
	s_cbranch_vccnz .LBB45_2
.LBB45_4:
	s_waitcnt lgkmcnt(0)
	s_ashr_i32 s1, s0, 31
	s_lshl_b64 s[12:13], s[0:1], 3
	s_add_u32 s10, s10, s12
	s_addc_u32 s11, s11, s13
	s_load_dwordx2 s[10:11], s[10:11], 0x8
	s_waitcnt lgkmcnt(0)
	s_sub_u32 s34, s10, s44
	s_subb_u32 s35, s11, 0
	s_load_dword s33, s[4:5], 0x0
	s_waitcnt lgkmcnt(0)
	s_cmp_lt_i32 s33, 1
	s_cbranch_scc1 .LBB45_64
.LBB45_5:
	s_load_dwordx8 s[24:31], s[4:5], 0x40
	s_bitcmp1_b32 s7, 8
	s_cselect_b64 s[48:49], -1, 0
	s_ashr_i32 s1, s0, 31
	s_lshl_b64 s[6:7], s[0:1], 3
	s_waitcnt lgkmcnt(0)
	s_add_u32 s0, s26, s6
	s_addc_u32 s1, s27, s7
	s_load_dwordx2 s[10:11], s[0:1], 0x0
	s_load_dwordx8 s[36:43], s[4:5], 0x20
	v_lshrrev_b32_e32 v5, 4, v0
	v_mov_b32_e32 v2, s3
	v_add_co_u32_e32 v1, vcc, s2, v5
	s_waitcnt lgkmcnt(0)
	s_sub_u32 s20, s10, s46
	v_addc_co_u32_e32 v2, vcc, 0, v2, vcc
	v_mbcnt_lo_u32_b32 v3, -1, 0
	s_subb_u32 s21, s11, 0
	v_cmp_gt_i64_e32 vcc, s[34:35], v[1:2]
	v_subrev_co_u32_e64 v23, s[4:5], s47, v0
	v_mbcnt_hi_u32_b32 v3, -1, v3
	s_add_u32 s26, s42, s6
	v_subb_co_u32_e64 v24, s[4:5], 0, 0, s[4:5]
	v_sub_u32_e32 v3, 63, v3
	v_and_b32_e32 v21, 15, v0
	s_addc_u32 s27, s43, s7
	v_lshrrev_b64 v[3:4], v3, -1
	v_and_b32_e32 v25, 28, v5
	s_movk_i32 s4, 0x1ff
	s_and_b64 s[42:43], s[8:9], vcc
	s_movk_i32 s8, 0x80
	s_movk_i32 s10, 0xc0
	s_movk_i32 s12, 0x100
	s_movk_i32 s14, 0x140
	s_movk_i32 s16, 0x180
	s_movk_i32 s18, 0x1c0
	v_mov_b32_e32 v5, s20
	v_cmp_eq_u32_e64 s[0:1], 0, v0
	v_mov_b32_e32 v22, 0
	s_mov_b32 s68, s45
	v_cmp_eq_u32_e64 s[2:3], 15, v21
	s_mov_b32 s69, s47
	v_cmp_eq_u32_e64 s[4:5], s4, v0
	v_cmp_gt_u32_e64 s[6:7], 64, v0
	v_cmp_gt_u32_e64 s[8:9], s8, v0
	v_cmp_gt_u32_e64 s[10:11], s10, v0
	v_cmp_gt_u32_e64 s[12:13], s12, v0
	v_cmp_gt_u32_e64 s[14:15], s14, v0
	v_cmp_gt_u32_e64 s[16:17], s16, v0
	v_cmp_gt_u32_e64 s[18:19], s18, v0
	s_mov_b64 s[50:51], -1
	v_mov_b32_e32 v28, 0x800
	v_mov_b32_e32 v6, s21
	v_mov_b32_e32 v26, 1
	s_movk_i32 s70, 0x5ff
	v_mov_b32_e32 v27, 0
	s_branch .LBB45_7
.LBB45_6:                               ;   in Loop: Header=BB45_7 Depth=1
	s_or_b64 exec, exec, s[20:21]
	ds_read_b32 v27, v22 offset:10240
	s_waitcnt lgkmcnt(0)
	s_barrier
	v_cmp_le_i32_e32 vcc, s33, v27
	v_add_u32_e32 v28, 0x800, v27
	s_cbranch_vccnz .LBB45_64
.LBB45_7:                               ; =>This Loop Header: Depth=1
                                        ;     Child Loop BB45_16 Depth 2
                                        ;       Child Loop BB45_22 Depth 3
                                        ;     Child Loop BB45_43 Depth 2
                                        ;     Child Loop BB45_55 Depth 2
	;; [unrolled: 1-line block ×3, first 2 shown]
	s_and_saveexec_b64 s[20:21], s[50:51]
	s_cbranch_execnz .LBB45_34
; %bb.8:                                ;   in Loop: Header=BB45_7 Depth=1
	s_or_b64 exec, exec, s[20:21]
	s_and_saveexec_b64 s[20:21], s[50:51]
	s_cbranch_execnz .LBB45_35
.LBB45_9:                               ;   in Loop: Header=BB45_7 Depth=1
	s_or_b64 exec, exec, s[20:21]
	s_and_saveexec_b64 s[20:21], s[50:51]
	s_cbranch_execnz .LBB45_36
.LBB45_10:                              ;   in Loop: Header=BB45_7 Depth=1
	s_or_b64 exec, exec, s[20:21]
	s_and_saveexec_b64 s[20:21], s[50:51]
	s_cbranch_execnz .LBB45_37
.LBB45_11:                              ;   in Loop: Header=BB45_7 Depth=1
	s_or_b64 exec, exec, s[20:21]
	s_and_saveexec_b64 s[20:21], s[0:1]
.LBB45_12:                              ;   in Loop: Header=BB45_7 Depth=1
	v_mov_b32_e32 v7, s33
	ds_write_b32 v22, v7 offset:10240
.LBB45_13:                              ;   in Loop: Header=BB45_7 Depth=1
	s_or_b64 exec, exec, s[20:21]
	v_mov_b32_e32 v29, s33
	s_waitcnt lgkmcnt(0)
	s_barrier
	s_and_saveexec_b64 s[52:53], s[42:43]
	s_cbranch_execz .LBB45_39
; %bb.14:                               ;   in Loop: Header=BB45_7 Depth=1
	v_mov_b32_e32 v8, v2
	s_mov_b64 s[54:55], 0
	v_cmp_ne_u32_e64 s[20:21], 0, v27
	v_mov_b32_e32 v29, s33
	v_mov_b32_e32 v7, v1
	s_branch .LBB45_16
.LBB45_15:                              ;   in Loop: Header=BB45_16 Depth=2
	s_or_b64 exec, exec, s[22:23]
	v_add_co_u32_e32 v7, vcc, 32, v7
	v_addc_co_u32_e32 v8, vcc, 0, v8, vcc
	v_cmp_le_i64_e32 vcc, s[34:35], v[7:8]
	s_or_b64 s[54:55], vcc, s[54:55]
	s_andn2_b64 exec, exec, s[54:55]
	s_cbranch_execz .LBB45_38
.LBB45_16:                              ;   Parent Loop BB45_7 Depth=1
                                        ; =>  This Loop Header: Depth=2
                                        ;       Child Loop BB45_22 Depth 3
	v_lshlrev_b64 v[9:10], 2, v[7:8]
	v_mov_b32_e32 v11, s37
	v_add_co_u32_e32 v9, vcc, s36, v9
	v_addc_co_u32_e32 v10, vcc, v11, v10, vcc
	global_load_dword v11, v[9:10], off
	v_lshlrev_b64 v[9:10], 3, v[7:8]
	s_and_b64 vcc, exec, s[20:21]
	s_waitcnt vmcnt(0)
	v_subrev_u32_e32 v11, s44, v11
	v_ashrrev_i32_e32 v12, 31, v11
	s_cbranch_vccz .LBB45_33
; %bb.17:                               ;   in Loop: Header=BB45_16 Depth=2
	v_mov_b32_e32 v14, s31
	v_add_co_u32_e32 v13, vcc, s30, v9
	v_addc_co_u32_e32 v14, vcc, v14, v10, vcc
	global_load_dwordx2 v[15:16], v[13:14], off
	s_cbranch_execnz .LBB45_19
.LBB45_18:                              ;   in Loop: Header=BB45_16 Depth=2
	v_lshlrev_b64 v[13:14], 3, v[11:12]
	s_waitcnt vmcnt(0)
	v_mov_b32_e32 v15, s39
	v_add_co_u32_e32 v13, vcc, s38, v13
	v_addc_co_u32_e32 v14, vcc, v15, v14, vcc
	global_load_dwordx2 v[13:14], v[13:14], off
	s_waitcnt vmcnt(0)
	v_subrev_co_u32_e32 v15, vcc, s68, v13
	v_subbrev_co_u32_e32 v16, vcc, 0, v14, vcc
.LBB45_19:                              ;   in Loop: Header=BB45_16 Depth=2
	v_lshlrev_b64 v[11:12], 3, v[11:12]
	v_mov_b32_e32 v13, s39
	v_add_co_u32_e32 v11, vcc, s38, v11
	v_addc_co_u32_e32 v12, vcc, v13, v12, vcc
	global_load_dwordx2 v[11:12], v[11:12], off offset:8
	s_waitcnt vmcnt(0)
	v_subrev_co_u32_e32 v13, vcc, s68, v11
	v_subbrev_co_u32_e32 v14, vcc, 0, v12, vcc
	v_add_co_u32_e32 v11, vcc, v15, v21
	v_addc_co_u32_e32 v12, vcc, 0, v16, vcc
	v_cmp_lt_i64_e32 vcc, v[11:12], v[13:14]
	s_and_saveexec_b64 s[56:57], vcc
	s_cbranch_execz .LBB45_31
; %bb.20:                               ;   in Loop: Header=BB45_16 Depth=2
	v_lshlrev_b64 v[15:16], 2, v[11:12]
	v_mov_b32_e32 v17, s41
	v_add_co_u32_e32 v15, vcc, s40, v15
	v_mov_b32_e32 v20, v12
	v_addc_co_u32_e32 v16, vcc, v17, v16, vcc
	s_mov_b64 s[60:61], 0
	v_mov_b32_e32 v19, v11
                                        ; implicit-def: $sgpr58_sgpr59
                                        ; implicit-def: $sgpr62_sgpr63
	s_branch .LBB45_22
.LBB45_21:                              ;   in Loop: Header=BB45_22 Depth=3
	s_or_b64 exec, exec, s[64:65]
	s_and_b64 s[22:23], exec, s[66:67]
	s_or_b64 s[60:61], s[22:23], s[60:61]
	s_andn2_b64 s[22:23], s[58:59], exec
	s_and_b64 s[58:59], s[62:63], exec
	s_or_b64 s[58:59], s[22:23], s[58:59]
	s_andn2_b64 exec, exec, s[60:61]
	s_cbranch_execz .LBB45_28
.LBB45_22:                              ;   Parent Loop BB45_7 Depth=1
                                        ;     Parent Loop BB45_16 Depth=2
                                        ; =>    This Inner Loop Header: Depth=3
	global_load_dword v30, v[15:16], off
	v_mov_b32_e32 v17, v19
	v_mov_b32_e32 v18, v20
	s_waitcnt vmcnt(0)
	v_subrev_u32_e32 v30, s45, v30
	v_cmp_lt_i32_e32 vcc, v30, v27
	v_cmp_ge_i32_e64 s[22:23], v30, v28
	s_or_b64 s[64:65], vcc, s[22:23]
	s_mov_b64 s[22:23], 0
	s_and_saveexec_b64 s[66:67], s[64:65]
	s_xor_b64 s[64:65], exec, s[66:67]
; %bb.23:                               ;   in Loop: Header=BB45_22 Depth=3
	v_cmp_lt_i32_e32 vcc, v30, v28
	s_and_b64 s[22:23], vcc, exec
; %bb.24:                               ;   in Loop: Header=BB45_22 Depth=3
	s_andn2_saveexec_b64 s[64:65], s[64:65]
; %bb.25:                               ;   in Loop: Header=BB45_22 Depth=3
	v_sub_u32_e32 v19, v30, v27
	s_or_b64 s[22:23], s[22:23], exec
	ds_write_b8 v19, v26 offset:8192
; %bb.26:                               ;   in Loop: Header=BB45_22 Depth=3
	s_or_b64 exec, exec, s[64:65]
	s_mov_b64 s[66:67], -1
	s_or_b64 s[62:63], s[62:63], exec
                                        ; implicit-def: $vgpr19_vgpr20
	s_and_saveexec_b64 s[64:65], s[22:23]
	s_cbranch_execz .LBB45_21
; %bb.27:                               ;   in Loop: Header=BB45_22 Depth=3
	v_add_co_u32_e32 v19, vcc, 16, v17
	v_addc_co_u32_e32 v20, vcc, 0, v18, vcc
	v_add_co_u32_e32 v15, vcc, 64, v15
	v_addc_co_u32_e32 v16, vcc, 0, v16, vcc
	v_cmp_ge_i64_e32 vcc, v[19:20], v[13:14]
	s_andn2_b64 s[62:63], s[62:63], exec
	s_orn2_b64 s[66:67], vcc, exec
	s_branch .LBB45_21
.LBB45_28:                              ;   in Loop: Header=BB45_16 Depth=2
	s_or_b64 exec, exec, s[60:61]
	s_and_saveexec_b64 s[22:23], s[58:59]
	s_xor_b64 s[22:23], exec, s[22:23]
; %bb.29:                               ;   in Loop: Header=BB45_16 Depth=2
	v_mov_b32_e32 v11, v17
	v_min_i32_e32 v29, v30, v29
	v_mov_b32_e32 v12, v18
; %bb.30:                               ;   in Loop: Header=BB45_16 Depth=2
	s_or_b64 exec, exec, s[22:23]
.LBB45_31:                              ;   in Loop: Header=BB45_16 Depth=2
	s_or_b64 exec, exec, s[56:57]
	v_mov_b32_dpp v13, v11 row_shr:1 row_mask:0xf bank_mask:0xf
	v_mov_b32_dpp v14, v12 row_shr:1 row_mask:0xf bank_mask:0xf
	v_cmp_lt_i64_e32 vcc, v[13:14], v[11:12]
	v_cndmask_b32_e32 v12, v12, v14, vcc
	v_cndmask_b32_e32 v11, v11, v13, vcc
	s_nop 0
	v_mov_b32_dpp v14, v12 row_shr:2 row_mask:0xf bank_mask:0xf
	v_mov_b32_dpp v13, v11 row_shr:2 row_mask:0xf bank_mask:0xf
	v_cmp_lt_i64_e32 vcc, v[13:14], v[11:12]
	v_cndmask_b32_e32 v12, v12, v14, vcc
	v_cndmask_b32_e32 v11, v11, v13, vcc
	s_nop 0
	;; [unrolled: 6-line block ×3, first 2 shown]
	v_mov_b32_dpp v15, v12 row_shr:8 row_mask:0xf bank_mask:0xc
	v_mov_b32_dpp v13, v11 row_shr:8 row_mask:0xf bank_mask:0xc
	s_and_saveexec_b64 s[22:23], s[2:3]
	s_cbranch_execz .LBB45_15
; %bb.32:                               ;   in Loop: Header=BB45_16 Depth=2
	v_mov_b32_e32 v14, v15
	v_cmp_lt_i64_e32 vcc, v[13:14], v[11:12]
	v_cndmask_b32_e32 v12, v12, v15, vcc
	v_cndmask_b32_e32 v11, v11, v13, vcc
	v_mov_b32_e32 v13, s31
	v_add_co_u32_e32 v9, vcc, s30, v9
	v_addc_co_u32_e32 v10, vcc, v13, v10, vcc
	global_store_dwordx2 v[9:10], v[11:12], off
	s_branch .LBB45_15
.LBB45_33:                              ;   in Loop: Header=BB45_16 Depth=2
                                        ; implicit-def: $vgpr15_vgpr16
	s_branch .LBB45_18
.LBB45_34:                              ;   in Loop: Header=BB45_7 Depth=1
	ds_write_b8 v0, v22 offset:8192
	s_or_b64 exec, exec, s[20:21]
	s_and_saveexec_b64 s[20:21], s[50:51]
	s_cbranch_execz .LBB45_9
.LBB45_35:                              ;   in Loop: Header=BB45_7 Depth=1
	ds_write_b8 v0, v22 offset:8704
	s_or_b64 exec, exec, s[20:21]
	s_and_saveexec_b64 s[20:21], s[50:51]
	s_cbranch_execz .LBB45_10
.LBB45_36:                              ;   in Loop: Header=BB45_7 Depth=1
	ds_write_b8 v0, v22 offset:9216
	s_or_b64 exec, exec, s[20:21]
	s_and_saveexec_b64 s[20:21], s[50:51]
	s_cbranch_execz .LBB45_11
.LBB45_37:                              ;   in Loop: Header=BB45_7 Depth=1
	ds_write_b8 v0, v22 offset:9728
	s_or_b64 exec, exec, s[20:21]
	s_and_saveexec_b64 s[20:21], s[0:1]
	s_cbranch_execnz .LBB45_12
	s_branch .LBB45_13
.LBB45_38:                              ;   in Loop: Header=BB45_7 Depth=1
	s_or_b64 exec, exec, s[54:55]
.LBB45_39:                              ;   in Loop: Header=BB45_7 Depth=1
	s_or_b64 exec, exec, s[52:53]
	s_andn2_b64 vcc, exec, s[48:49]
	s_cbranch_vccnz .LBB45_53
; %bb.40:                               ;   in Loop: Header=BB45_7 Depth=1
	s_load_dwordx4 s[20:23], s[26:27], 0x0
	s_waitcnt lgkmcnt(0)
	s_sub_u32 s52, s22, s69
	v_mov_b32_e32 v8, s21
	v_add_co_u32_e32 v7, vcc, s20, v23
	s_subb_u32 s53, s23, 0
	v_addc_co_u32_e32 v8, vcc, v8, v24, vcc
	v_cmp_gt_i64_e32 vcc, s[52:53], v[7:8]
	s_and_saveexec_b64 s[22:23], vcc
	s_cbranch_execz .LBB45_52
; %bb.41:                               ;   in Loop: Header=BB45_7 Depth=1
	v_lshlrev_b64 v[9:10], 2, v[7:8]
	v_mov_b32_e32 v11, s25
	v_add_co_u32_e32 v9, vcc, s24, v9
	v_addc_co_u32_e32 v10, vcc, v11, v10, vcc
	s_mov_b64 s[54:55], 0
                                        ; implicit-def: $sgpr56_sgpr57
                                        ; implicit-def: $sgpr58_sgpr59
	s_branch .LBB45_43
.LBB45_42:                              ;   in Loop: Header=BB45_43 Depth=2
	s_or_b64 exec, exec, s[60:61]
	s_and_b64 s[20:21], exec, s[62:63]
	s_or_b64 s[54:55], s[20:21], s[54:55]
	s_andn2_b64 s[20:21], s[56:57], exec
	s_and_b64 s[56:57], s[58:59], exec
	s_or_b64 s[56:57], s[20:21], s[56:57]
	s_andn2_b64 exec, exec, s[54:55]
	s_cbranch_execz .LBB45_49
.LBB45_43:                              ;   Parent Loop BB45_7 Depth=1
                                        ; =>  This Inner Loop Header: Depth=2
	global_load_dword v11, v[9:10], off
	s_waitcnt vmcnt(0)
	v_subrev_u32_e32 v11, s47, v11
	v_cmp_lt_i32_e32 vcc, v11, v27
	v_cmp_ge_i32_e64 s[20:21], v11, v28
	s_or_b64 s[60:61], vcc, s[20:21]
	s_mov_b64 s[20:21], 0
	s_and_saveexec_b64 s[62:63], s[60:61]
	s_xor_b64 s[60:61], exec, s[62:63]
; %bb.44:                               ;   in Loop: Header=BB45_43 Depth=2
	v_cmp_lt_i32_e32 vcc, v11, v28
	s_and_b64 s[20:21], vcc, exec
; %bb.45:                               ;   in Loop: Header=BB45_43 Depth=2
	s_andn2_saveexec_b64 s[60:61], s[60:61]
; %bb.46:                               ;   in Loop: Header=BB45_43 Depth=2
	v_sub_u32_e32 v12, v11, v27
	s_or_b64 s[20:21], s[20:21], exec
	ds_write_b8 v12, v26 offset:8192
; %bb.47:                               ;   in Loop: Header=BB45_43 Depth=2
	s_or_b64 exec, exec, s[60:61]
	s_mov_b64 s[62:63], -1
	s_or_b64 s[58:59], s[58:59], exec
	s_and_saveexec_b64 s[60:61], s[20:21]
	s_cbranch_execz .LBB45_42
; %bb.48:                               ;   in Loop: Header=BB45_43 Depth=2
	v_add_co_u32_e32 v7, vcc, 0x200, v7
	v_addc_co_u32_e32 v8, vcc, 0, v8, vcc
	v_add_co_u32_e32 v9, vcc, 0x800, v9
	v_addc_co_u32_e32 v10, vcc, 0, v10, vcc
	v_cmp_le_i64_e32 vcc, s[52:53], v[7:8]
	s_andn2_b64 s[58:59], s[58:59], exec
	s_orn2_b64 s[62:63], vcc, exec
	s_branch .LBB45_42
.LBB45_49:                              ;   in Loop: Header=BB45_7 Depth=1
	s_or_b64 exec, exec, s[54:55]
	s_and_saveexec_b64 s[20:21], s[56:57]
	s_xor_b64 s[20:21], exec, s[20:21]
; %bb.50:                               ;   in Loop: Header=BB45_7 Depth=1
	v_min_i32_e32 v29, v11, v29
; %bb.51:                               ;   in Loop: Header=BB45_7 Depth=1
	s_or_b64 exec, exec, s[20:21]
.LBB45_52:                              ;   in Loop: Header=BB45_7 Depth=1
	s_or_b64 exec, exec, s[22:23]
.LBB45_53:                              ;   in Loop: Header=BB45_7 Depth=1
	v_mov_b32_dpp v7, v29 row_shr:1 row_mask:0xf bank_mask:0xf
	v_min_i32_e32 v7, v7, v29
	s_nop 1
	v_mov_b32_dpp v8, v7 row_shr:2 row_mask:0xf bank_mask:0xf
	v_min_i32_e32 v7, v8, v7
	s_nop 1
	v_mov_b32_dpp v8, v7 row_shr:4 row_mask:0xf bank_mask:0xe
	v_min_i32_e32 v7, v8, v7
	s_nop 1
	v_mov_b32_dpp v8, v7 row_shr:8 row_mask:0xf bank_mask:0xc
	s_and_saveexec_b64 s[20:21], s[2:3]
	s_cbranch_execz .LBB45_58
; %bb.54:                               ;   in Loop: Header=BB45_7 Depth=1
	s_mov_b64 s[22:23], exec
	v_min_i32_e32 v7, v8, v7
	s_brev_b32 s52, -2
.LBB45_55:                              ;   Parent Loop BB45_7 Depth=1
                                        ; =>  This Inner Loop Header: Depth=2
	s_ff1_i32_b64 s53, s[22:23]
	v_readlane_b32 s56, v7, s53
	s_lshl_b64 s[54:55], 1, s53
	s_min_i32 s52, s52, s56
	s_andn2_b64 s[22:23], s[22:23], s[54:55]
	s_cmp_lg_u64 s[22:23], 0
	s_cbranch_scc1 .LBB45_55
; %bb.56:                               ;   in Loop: Header=BB45_7 Depth=1
	v_mbcnt_lo_u32_b32 v7, exec_lo, 0
	v_mbcnt_hi_u32_b32 v7, exec_hi, v7
	v_cmp_eq_u32_e32 vcc, 0, v7
	s_and_saveexec_b64 s[22:23], vcc
	s_xor_b64 s[22:23], exec, s[22:23]
; %bb.57:                               ;   in Loop: Header=BB45_7 Depth=1
	v_mov_b32_e32 v7, s52
	ds_min_i32 v22, v7 offset:10240
.LBB45_58:                              ;   in Loop: Header=BB45_7 Depth=1
	s_or_b64 exec, exec, s[20:21]
	v_add_u32_e32 v9, s46, v27
	s_mov_b64 s[20:21], 0
	v_mov_b32_e32 v10, v0
	s_waitcnt vmcnt(0) lgkmcnt(0)
	s_barrier
	s_branch .LBB45_60
.LBB45_59:                              ;   in Loop: Header=BB45_60 Depth=2
	s_or_b64 exec, exec, s[22:23]
	s_waitcnt vmcnt(0) lgkmcnt(0)
	s_barrier
	ds_read_b32 v7, v22 offset:28
	s_waitcnt lgkmcnt(0)
	v_ashrrev_i32_e32 v8, 31, v7
	v_add_co_u32_e32 v5, vcc, v5, v7
	v_addc_co_u32_e32 v6, vcc, v6, v8, vcc
	v_add_u32_e32 v7, 0x200, v10
	v_cmp_lt_u32_e32 vcc, s70, v10
	s_or_b64 s[20:21], vcc, s[20:21]
	v_mov_b32_e32 v10, v7
	s_andn2_b64 exec, exec, s[20:21]
	s_cbranch_execz .LBB45_6
.LBB45_60:                              ;   Parent Loop BB45_7 Depth=1
                                        ; =>  This Inner Loop Header: Depth=2
	ds_read_u8 v8, v10 offset:8192
	s_waitcnt lgkmcnt(0)
	s_barrier
	v_cmp_ne_u16_e32 vcc, 0, v8
	s_bcnt1_i32_b64 s22, vcc
	v_mov_b32_e32 v11, s22
	ds_write_b32 v25, v11
	s_waitcnt lgkmcnt(0)
	s_barrier
	ds_read_b128 v[11:14], v22
	v_and_b32_e32 v15, vcc_lo, v3
	v_and_b32_e32 v7, vcc_hi, v4
	v_bcnt_u32_b32 v15, v15, 0
	v_bcnt_u32_b32 v7, v7, v15
	ds_read_b96 v[15:17], v22 offset:16
	s_waitcnt lgkmcnt(1)
	v_cndmask_b32_e64 v11, v11, 0, s[6:7]
	v_add_u32_e32 v7, v11, v7
	v_cndmask_b32_e64 v11, v12, 0, s[8:9]
	v_cndmask_b32_e64 v12, v13, 0, s[10:11]
	v_add3_u32 v7, v7, v11, v12
	v_cndmask_b32_e64 v11, v14, 0, s[12:13]
	s_waitcnt lgkmcnt(0)
	v_cndmask_b32_e64 v12, v15, 0, s[14:15]
	v_add3_u32 v7, v7, v11, v12
	v_cndmask_b32_e64 v11, v16, 0, s[16:17]
	v_cndmask_b32_e64 v12, v17, 0, s[18:19]
	v_and_b32_e32 v8, 1, v8
	v_add3_u32 v7, v7, v11, v12
	v_cmp_eq_u32_e32 vcc, 1, v8
	s_and_saveexec_b64 s[22:23], vcc
	s_cbranch_execz .LBB45_62
; %bb.61:                               ;   in Loop: Header=BB45_60 Depth=2
	v_lshlrev_b64 v[11:12], 2, v[5:6]
	v_mov_b32_e32 v8, s29
	v_add_co_u32_e32 v14, vcc, s28, v11
	v_addc_co_u32_e32 v15, vcc, v8, v12, vcc
	v_ashrrev_i32_e32 v8, 31, v7
	v_lshlrev_b64 v[11:12], 2, v[7:8]
	v_add_u32_e32 v13, v9, v10
	v_add_co_u32_e32 v11, vcc, v14, v11
	v_addc_co_u32_e32 v12, vcc, v15, v12, vcc
	global_store_dword v[11:12], v13, off offset:-4
.LBB45_62:                              ;   in Loop: Header=BB45_60 Depth=2
	s_or_b64 exec, exec, s[22:23]
	s_and_saveexec_b64 s[22:23], s[4:5]
	s_cbranch_execz .LBB45_59
; %bb.63:                               ;   in Loop: Header=BB45_60 Depth=2
	ds_write_b32 v22, v7 offset:28
	s_branch .LBB45_59
.LBB45_64:
	s_endpgm
	.section	.rodata,"a",@progbits
	.p2align	6, 0x0
	.amdhsa_kernel _ZN9rocsparseL45csrgemm_symbolic_fill_block_per_row_multipassILj512ELj16ELj2048ELj64EliEEvT4_PKS1_S3_PKT3_S3_S6_S3_S6_S3_S6_PS1_PS4_21rocsparse_index_base_S9_S9_S9_bb
		.amdhsa_group_segment_fixed_size 10244
		.amdhsa_private_segment_fixed_size 0
		.amdhsa_kernarg_size 116
		.amdhsa_user_sgpr_count 6
		.amdhsa_user_sgpr_private_segment_buffer 1
		.amdhsa_user_sgpr_dispatch_ptr 0
		.amdhsa_user_sgpr_queue_ptr 0
		.amdhsa_user_sgpr_kernarg_segment_ptr 1
		.amdhsa_user_sgpr_dispatch_id 0
		.amdhsa_user_sgpr_flat_scratch_init 0
		.amdhsa_user_sgpr_private_segment_size 0
		.amdhsa_uses_dynamic_stack 0
		.amdhsa_system_sgpr_private_segment_wavefront_offset 0
		.amdhsa_system_sgpr_workgroup_id_x 1
		.amdhsa_system_sgpr_workgroup_id_y 0
		.amdhsa_system_sgpr_workgroup_id_z 0
		.amdhsa_system_sgpr_workgroup_info 0
		.amdhsa_system_vgpr_workitem_id 0
		.amdhsa_next_free_vgpr 31
		.amdhsa_next_free_sgpr 71
		.amdhsa_reserve_vcc 1
		.amdhsa_reserve_flat_scratch 0
		.amdhsa_float_round_mode_32 0
		.amdhsa_float_round_mode_16_64 0
		.amdhsa_float_denorm_mode_32 3
		.amdhsa_float_denorm_mode_16_64 3
		.amdhsa_dx10_clamp 1
		.amdhsa_ieee_mode 1
		.amdhsa_fp16_overflow 0
		.amdhsa_exception_fp_ieee_invalid_op 0
		.amdhsa_exception_fp_denorm_src 0
		.amdhsa_exception_fp_ieee_div_zero 0
		.amdhsa_exception_fp_ieee_overflow 0
		.amdhsa_exception_fp_ieee_underflow 0
		.amdhsa_exception_fp_ieee_inexact 0
		.amdhsa_exception_int_div_zero 0
	.end_amdhsa_kernel
	.section	.text._ZN9rocsparseL45csrgemm_symbolic_fill_block_per_row_multipassILj512ELj16ELj2048ELj64EliEEvT4_PKS1_S3_PKT3_S3_S6_S3_S6_S3_S6_PS1_PS4_21rocsparse_index_base_S9_S9_S9_bb,"axG",@progbits,_ZN9rocsparseL45csrgemm_symbolic_fill_block_per_row_multipassILj512ELj16ELj2048ELj64EliEEvT4_PKS1_S3_PKT3_S3_S6_S3_S6_S3_S6_PS1_PS4_21rocsparse_index_base_S9_S9_S9_bb,comdat
.Lfunc_end45:
	.size	_ZN9rocsparseL45csrgemm_symbolic_fill_block_per_row_multipassILj512ELj16ELj2048ELj64EliEEvT4_PKS1_S3_PKT3_S3_S6_S3_S6_S3_S6_PS1_PS4_21rocsparse_index_base_S9_S9_S9_bb, .Lfunc_end45-_ZN9rocsparseL45csrgemm_symbolic_fill_block_per_row_multipassILj512ELj16ELj2048ELj64EliEEvT4_PKS1_S3_PKT3_S3_S6_S3_S6_S3_S6_PS1_PS4_21rocsparse_index_base_S9_S9_S9_bb
                                        ; -- End function
	.set _ZN9rocsparseL45csrgemm_symbolic_fill_block_per_row_multipassILj512ELj16ELj2048ELj64EliEEvT4_PKS1_S3_PKT3_S3_S6_S3_S6_S3_S6_PS1_PS4_21rocsparse_index_base_S9_S9_S9_bb.num_vgpr, 31
	.set _ZN9rocsparseL45csrgemm_symbolic_fill_block_per_row_multipassILj512ELj16ELj2048ELj64EliEEvT4_PKS1_S3_PKT3_S3_S6_S3_S6_S3_S6_PS1_PS4_21rocsparse_index_base_S9_S9_S9_bb.num_agpr, 0
	.set _ZN9rocsparseL45csrgemm_symbolic_fill_block_per_row_multipassILj512ELj16ELj2048ELj64EliEEvT4_PKS1_S3_PKT3_S3_S6_S3_S6_S3_S6_PS1_PS4_21rocsparse_index_base_S9_S9_S9_bb.numbered_sgpr, 71
	.set _ZN9rocsparseL45csrgemm_symbolic_fill_block_per_row_multipassILj512ELj16ELj2048ELj64EliEEvT4_PKS1_S3_PKT3_S3_S6_S3_S6_S3_S6_PS1_PS4_21rocsparse_index_base_S9_S9_S9_bb.num_named_barrier, 0
	.set _ZN9rocsparseL45csrgemm_symbolic_fill_block_per_row_multipassILj512ELj16ELj2048ELj64EliEEvT4_PKS1_S3_PKT3_S3_S6_S3_S6_S3_S6_PS1_PS4_21rocsparse_index_base_S9_S9_S9_bb.private_seg_size, 0
	.set _ZN9rocsparseL45csrgemm_symbolic_fill_block_per_row_multipassILj512ELj16ELj2048ELj64EliEEvT4_PKS1_S3_PKT3_S3_S6_S3_S6_S3_S6_PS1_PS4_21rocsparse_index_base_S9_S9_S9_bb.uses_vcc, 1
	.set _ZN9rocsparseL45csrgemm_symbolic_fill_block_per_row_multipassILj512ELj16ELj2048ELj64EliEEvT4_PKS1_S3_PKT3_S3_S6_S3_S6_S3_S6_PS1_PS4_21rocsparse_index_base_S9_S9_S9_bb.uses_flat_scratch, 0
	.set _ZN9rocsparseL45csrgemm_symbolic_fill_block_per_row_multipassILj512ELj16ELj2048ELj64EliEEvT4_PKS1_S3_PKT3_S3_S6_S3_S6_S3_S6_PS1_PS4_21rocsparse_index_base_S9_S9_S9_bb.has_dyn_sized_stack, 0
	.set _ZN9rocsparseL45csrgemm_symbolic_fill_block_per_row_multipassILj512ELj16ELj2048ELj64EliEEvT4_PKS1_S3_PKT3_S3_S6_S3_S6_S3_S6_PS1_PS4_21rocsparse_index_base_S9_S9_S9_bb.has_recursion, 0
	.set _ZN9rocsparseL45csrgemm_symbolic_fill_block_per_row_multipassILj512ELj16ELj2048ELj64EliEEvT4_PKS1_S3_PKT3_S3_S6_S3_S6_S3_S6_PS1_PS4_21rocsparse_index_base_S9_S9_S9_bb.has_indirect_call, 0
	.section	.AMDGPU.csdata,"",@progbits
; Kernel info:
; codeLenInByte = 2176
; TotalNumSgprs: 75
; NumVgprs: 31
; ScratchSize: 0
; MemoryBound: 0
; FloatMode: 240
; IeeeMode: 1
; LDSByteSize: 10244 bytes/workgroup (compile time only)
; SGPRBlocks: 9
; VGPRBlocks: 7
; NumSGPRsForWavesPerEU: 75
; NumVGPRsForWavesPerEU: 31
; Occupancy: 8
; WaveLimiterHint : 1
; COMPUTE_PGM_RSRC2:SCRATCH_EN: 0
; COMPUTE_PGM_RSRC2:USER_SGPR: 6
; COMPUTE_PGM_RSRC2:TRAP_HANDLER: 0
; COMPUTE_PGM_RSRC2:TGID_X_EN: 1
; COMPUTE_PGM_RSRC2:TGID_Y_EN: 0
; COMPUTE_PGM_RSRC2:TGID_Z_EN: 0
; COMPUTE_PGM_RSRC2:TIDIG_COMP_CNT: 0
	.section	.text._ZN9rocsparseL34csrgemm_symbolic_max_row_nnz_part1ILj256EllEEvT1_PKT0_PS1_,"axG",@progbits,_ZN9rocsparseL34csrgemm_symbolic_max_row_nnz_part1ILj256EllEEvT1_PKT0_PS1_,comdat
	.globl	_ZN9rocsparseL34csrgemm_symbolic_max_row_nnz_part1ILj256EllEEvT1_PKT0_PS1_ ; -- Begin function _ZN9rocsparseL34csrgemm_symbolic_max_row_nnz_part1ILj256EllEEvT1_PKT0_PS1_
	.p2align	8
	.type	_ZN9rocsparseL34csrgemm_symbolic_max_row_nnz_part1ILj256EllEEvT1_PKT0_PS1_,@function
_ZN9rocsparseL34csrgemm_symbolic_max_row_nnz_part1ILj256EllEEvT1_PKT0_PS1_: ; @_ZN9rocsparseL34csrgemm_symbolic_max_row_nnz_part1ILj256EllEEvT1_PKT0_PS1_
; %bb.0:
	s_load_dwordx2 s[0:1], s[4:5], 0x0
	s_load_dwordx2 s[2:3], s[4:5], 0x10
	v_lshl_or_b32 v1, s6, 8, v0
	v_mov_b32_e32 v2, 0
	v_mov_b32_e32 v3, 0
	s_waitcnt lgkmcnt(0)
	v_cmp_gt_i64_e32 vcc, s[0:1], v[1:2]
	v_mov_b32_e32 v4, 0
	s_and_saveexec_b64 s[8:9], vcc
	s_cbranch_execz .LBB46_4
; %bb.1:
	s_load_dword s7, s[4:5], 0x18
	s_load_dwordx2 s[10:11], s[4:5], 0x8
	v_lshlrev_b64 v[3:4], 3, v[1:2]
	s_mov_b32 s5, 0
	s_waitcnt lgkmcnt(0)
	s_lshl_b32 s4, s7, 8
	v_mov_b32_e32 v6, s11
	v_add_co_u32_e32 v5, vcc, s10, v3
	v_addc_co_u32_e32 v6, vcc, v6, v4, vcc
	s_lshl_b64 s[12:13], s[4:5], 3
	v_mov_b32_e32 v3, 0
	s_mov_b64 s[10:11], 0
	v_mov_b32_e32 v4, 0
	v_mov_b32_e32 v7, s13
.LBB46_2:                               ; =>This Inner Loop Header: Depth=1
	global_load_dwordx4 v[8:11], v[5:6], off
	v_add_co_u32_e32 v1, vcc, s4, v1
	v_addc_co_u32_e32 v2, vcc, 0, v2, vcc
	v_add_co_u32_e32 v5, vcc, s12, v5
	v_addc_co_u32_e32 v6, vcc, v6, v7, vcc
	v_cmp_le_i64_e32 vcc, s[0:1], v[1:2]
	s_or_b64 s[10:11], vcc, s[10:11]
	s_waitcnt vmcnt(0)
	v_sub_co_u32_e32 v8, vcc, v10, v8
	v_subb_co_u32_e32 v9, vcc, v11, v9, vcc
	v_cmp_gt_i64_e32 vcc, v[3:4], v[8:9]
	v_cndmask_b32_e32 v4, v9, v4, vcc
	v_cndmask_b32_e32 v3, v8, v3, vcc
	s_andn2_b64 exec, exec, s[10:11]
	s_cbranch_execnz .LBB46_2
; %bb.3:
	s_or_b64 exec, exec, s[10:11]
.LBB46_4:
	s_or_b64 exec, exec, s[8:9]
	s_movk_i32 s0, 0x80
	v_lshlrev_b32_e32 v1, 3, v0
	v_cmp_gt_u32_e32 vcc, s0, v0
	ds_write_b64 v1, v[3:4]
	s_waitcnt lgkmcnt(0)
	s_barrier
	s_and_saveexec_b64 s[0:1], vcc
	s_cbranch_execz .LBB46_6
; %bb.5:
	ds_read2st64_b64 v[2:5], v1 offset1:2
	s_waitcnt lgkmcnt(0)
	v_cmp_gt_i64_e32 vcc, v[2:3], v[4:5]
	v_cndmask_b32_e32 v3, v5, v3, vcc
	v_cndmask_b32_e32 v2, v4, v2, vcc
	ds_write_b64 v1, v[2:3]
.LBB46_6:
	s_or_b64 exec, exec, s[0:1]
	v_cmp_gt_u32_e32 vcc, 64, v0
	s_waitcnt lgkmcnt(0)
	s_barrier
	s_and_saveexec_b64 s[0:1], vcc
	s_cbranch_execz .LBB46_8
; %bb.7:
	ds_read2st64_b64 v[2:5], v1 offset1:1
	s_waitcnt lgkmcnt(0)
	v_cmp_gt_i64_e32 vcc, v[2:3], v[4:5]
	v_cndmask_b32_e32 v3, v5, v3, vcc
	v_cndmask_b32_e32 v2, v4, v2, vcc
	ds_write_b64 v1, v[2:3]
.LBB46_8:
	s_or_b64 exec, exec, s[0:1]
	v_cmp_gt_u32_e32 vcc, 32, v0
	s_waitcnt lgkmcnt(0)
	s_barrier
	s_and_saveexec_b64 s[0:1], vcc
	s_cbranch_execz .LBB46_10
; %bb.9:
	ds_read2_b64 v[2:5], v1 offset1:32
	s_waitcnt lgkmcnt(0)
	v_cmp_gt_i64_e32 vcc, v[2:3], v[4:5]
	v_cndmask_b32_e32 v3, v5, v3, vcc
	v_cndmask_b32_e32 v2, v4, v2, vcc
	ds_write_b64 v1, v[2:3]
.LBB46_10:
	s_or_b64 exec, exec, s[0:1]
	v_cmp_gt_u32_e32 vcc, 16, v0
	s_waitcnt lgkmcnt(0)
	s_barrier
	s_and_saveexec_b64 s[0:1], vcc
	s_cbranch_execz .LBB46_12
; %bb.11:
	ds_read2_b64 v[2:5], v1 offset1:16
	s_waitcnt lgkmcnt(0)
	v_cmp_gt_i64_e32 vcc, v[2:3], v[4:5]
	v_cndmask_b32_e32 v3, v5, v3, vcc
	v_cndmask_b32_e32 v2, v4, v2, vcc
	ds_write_b64 v1, v[2:3]
.LBB46_12:
	;; [unrolled: 14-line block ×5, first 2 shown]
	s_or_b64 exec, exec, s[0:1]
	v_cmp_eq_u32_e32 vcc, 0, v0
	s_waitcnt lgkmcnt(0)
	s_barrier
	s_and_saveexec_b64 s[4:5], vcc
	s_cbranch_execz .LBB46_20
; %bb.19:
	v_mov_b32_e32 v4, 0
	ds_read_b128 v[0:3], v4
	s_waitcnt lgkmcnt(0)
	v_cmp_gt_i64_e64 s[0:1], v[0:1], v[2:3]
	v_cndmask_b32_e64 v1, v3, v1, s[0:1]
	v_cndmask_b32_e64 v0, v2, v0, s[0:1]
	ds_write_b64 v4, v[0:1]
.LBB46_20:
	s_or_b64 exec, exec, s[4:5]
	s_waitcnt lgkmcnt(0)
	s_barrier
	s_and_saveexec_b64 s[0:1], vcc
	s_cbranch_execz .LBB46_22
; %bb.21:
	v_mov_b32_e32 v2, 0
	ds_read_b64 v[0:1], v2
	s_mov_b32 s7, 0
	s_lshl_b64 s[0:1], s[6:7], 3
	s_add_u32 s0, s2, s0
	s_addc_u32 s1, s3, s1
	s_waitcnt lgkmcnt(0)
	global_store_dwordx2 v2, v[0:1], s[0:1]
.LBB46_22:
	s_endpgm
	.section	.rodata,"a",@progbits
	.p2align	6, 0x0
	.amdhsa_kernel _ZN9rocsparseL34csrgemm_symbolic_max_row_nnz_part1ILj256EllEEvT1_PKT0_PS1_
		.amdhsa_group_segment_fixed_size 2048
		.amdhsa_private_segment_fixed_size 0
		.amdhsa_kernarg_size 280
		.amdhsa_user_sgpr_count 6
		.amdhsa_user_sgpr_private_segment_buffer 1
		.amdhsa_user_sgpr_dispatch_ptr 0
		.amdhsa_user_sgpr_queue_ptr 0
		.amdhsa_user_sgpr_kernarg_segment_ptr 1
		.amdhsa_user_sgpr_dispatch_id 0
		.amdhsa_user_sgpr_flat_scratch_init 0
		.amdhsa_user_sgpr_private_segment_size 0
		.amdhsa_uses_dynamic_stack 0
		.amdhsa_system_sgpr_private_segment_wavefront_offset 0
		.amdhsa_system_sgpr_workgroup_id_x 1
		.amdhsa_system_sgpr_workgroup_id_y 0
		.amdhsa_system_sgpr_workgroup_id_z 0
		.amdhsa_system_sgpr_workgroup_info 0
		.amdhsa_system_vgpr_workitem_id 0
		.amdhsa_next_free_vgpr 12
		.amdhsa_next_free_sgpr 14
		.amdhsa_reserve_vcc 1
		.amdhsa_reserve_flat_scratch 0
		.amdhsa_float_round_mode_32 0
		.amdhsa_float_round_mode_16_64 0
		.amdhsa_float_denorm_mode_32 3
		.amdhsa_float_denorm_mode_16_64 3
		.amdhsa_dx10_clamp 1
		.amdhsa_ieee_mode 1
		.amdhsa_fp16_overflow 0
		.amdhsa_exception_fp_ieee_invalid_op 0
		.amdhsa_exception_fp_denorm_src 0
		.amdhsa_exception_fp_ieee_div_zero 0
		.amdhsa_exception_fp_ieee_overflow 0
		.amdhsa_exception_fp_ieee_underflow 0
		.amdhsa_exception_fp_ieee_inexact 0
		.amdhsa_exception_int_div_zero 0
	.end_amdhsa_kernel
	.section	.text._ZN9rocsparseL34csrgemm_symbolic_max_row_nnz_part1ILj256EllEEvT1_PKT0_PS1_,"axG",@progbits,_ZN9rocsparseL34csrgemm_symbolic_max_row_nnz_part1ILj256EllEEvT1_PKT0_PS1_,comdat
.Lfunc_end46:
	.size	_ZN9rocsparseL34csrgemm_symbolic_max_row_nnz_part1ILj256EllEEvT1_PKT0_PS1_, .Lfunc_end46-_ZN9rocsparseL34csrgemm_symbolic_max_row_nnz_part1ILj256EllEEvT1_PKT0_PS1_
                                        ; -- End function
	.set _ZN9rocsparseL34csrgemm_symbolic_max_row_nnz_part1ILj256EllEEvT1_PKT0_PS1_.num_vgpr, 12
	.set _ZN9rocsparseL34csrgemm_symbolic_max_row_nnz_part1ILj256EllEEvT1_PKT0_PS1_.num_agpr, 0
	.set _ZN9rocsparseL34csrgemm_symbolic_max_row_nnz_part1ILj256EllEEvT1_PKT0_PS1_.numbered_sgpr, 14
	.set _ZN9rocsparseL34csrgemm_symbolic_max_row_nnz_part1ILj256EllEEvT1_PKT0_PS1_.num_named_barrier, 0
	.set _ZN9rocsparseL34csrgemm_symbolic_max_row_nnz_part1ILj256EllEEvT1_PKT0_PS1_.private_seg_size, 0
	.set _ZN9rocsparseL34csrgemm_symbolic_max_row_nnz_part1ILj256EllEEvT1_PKT0_PS1_.uses_vcc, 1
	.set _ZN9rocsparseL34csrgemm_symbolic_max_row_nnz_part1ILj256EllEEvT1_PKT0_PS1_.uses_flat_scratch, 0
	.set _ZN9rocsparseL34csrgemm_symbolic_max_row_nnz_part1ILj256EllEEvT1_PKT0_PS1_.has_dyn_sized_stack, 0
	.set _ZN9rocsparseL34csrgemm_symbolic_max_row_nnz_part1ILj256EllEEvT1_PKT0_PS1_.has_recursion, 0
	.set _ZN9rocsparseL34csrgemm_symbolic_max_row_nnz_part1ILj256EllEEvT1_PKT0_PS1_.has_indirect_call, 0
	.section	.AMDGPU.csdata,"",@progbits
; Kernel info:
; codeLenInByte = 732
; TotalNumSgprs: 18
; NumVgprs: 12
; ScratchSize: 0
; MemoryBound: 0
; FloatMode: 240
; IeeeMode: 1
; LDSByteSize: 2048 bytes/workgroup (compile time only)
; SGPRBlocks: 2
; VGPRBlocks: 2
; NumSGPRsForWavesPerEU: 18
; NumVGPRsForWavesPerEU: 12
; Occupancy: 10
; WaveLimiterHint : 0
; COMPUTE_PGM_RSRC2:SCRATCH_EN: 0
; COMPUTE_PGM_RSRC2:USER_SGPR: 6
; COMPUTE_PGM_RSRC2:TRAP_HANDLER: 0
; COMPUTE_PGM_RSRC2:TGID_X_EN: 1
; COMPUTE_PGM_RSRC2:TGID_Y_EN: 0
; COMPUTE_PGM_RSRC2:TGID_Z_EN: 0
; COMPUTE_PGM_RSRC2:TIDIG_COMP_CNT: 0
	.section	.text._ZN9rocsparseL34csrgemm_symbolic_max_row_nnz_part2ILj256ElEEvPT0_,"axG",@progbits,_ZN9rocsparseL34csrgemm_symbolic_max_row_nnz_part2ILj256ElEEvPT0_,comdat
	.globl	_ZN9rocsparseL34csrgemm_symbolic_max_row_nnz_part2ILj256ElEEvPT0_ ; -- Begin function _ZN9rocsparseL34csrgemm_symbolic_max_row_nnz_part2ILj256ElEEvPT0_
	.p2align	8
	.type	_ZN9rocsparseL34csrgemm_symbolic_max_row_nnz_part2ILj256ElEEvPT0_,@function
_ZN9rocsparseL34csrgemm_symbolic_max_row_nnz_part2ILj256ElEEvPT0_: ; @_ZN9rocsparseL34csrgemm_symbolic_max_row_nnz_part2ILj256ElEEvPT0_
; %bb.0:
	s_load_dwordx2 s[2:3], s[4:5], 0x0
	v_lshlrev_b32_e32 v1, 3, v0
	s_movk_i32 s0, 0x80
	v_cmp_gt_u32_e32 vcc, s0, v0
	s_waitcnt lgkmcnt(0)
	global_load_dwordx2 v[2:3], v1, s[2:3]
	s_waitcnt vmcnt(0)
	ds_write_b64 v1, v[2:3]
	s_waitcnt lgkmcnt(0)
	s_barrier
	s_and_saveexec_b64 s[0:1], vcc
	s_cbranch_execz .LBB47_2
; %bb.1:
	ds_read2st64_b64 v[2:5], v1 offset1:2
	s_waitcnt lgkmcnt(0)
	v_cmp_gt_i64_e32 vcc, v[2:3], v[4:5]
	v_cndmask_b32_e32 v3, v5, v3, vcc
	v_cndmask_b32_e32 v2, v4, v2, vcc
	ds_write_b64 v1, v[2:3]
.LBB47_2:
	s_or_b64 exec, exec, s[0:1]
	v_cmp_gt_u32_e32 vcc, 64, v0
	s_waitcnt lgkmcnt(0)
	s_barrier
	s_and_saveexec_b64 s[0:1], vcc
	s_cbranch_execz .LBB47_4
; %bb.3:
	ds_read2st64_b64 v[2:5], v1 offset1:1
	s_waitcnt lgkmcnt(0)
	v_cmp_gt_i64_e32 vcc, v[2:3], v[4:5]
	v_cndmask_b32_e32 v3, v5, v3, vcc
	v_cndmask_b32_e32 v2, v4, v2, vcc
	ds_write_b64 v1, v[2:3]
.LBB47_4:
	s_or_b64 exec, exec, s[0:1]
	v_cmp_gt_u32_e32 vcc, 32, v0
	s_waitcnt lgkmcnt(0)
	s_barrier
	s_and_saveexec_b64 s[0:1], vcc
	s_cbranch_execz .LBB47_6
; %bb.5:
	ds_read2_b64 v[2:5], v1 offset1:32
	s_waitcnt lgkmcnt(0)
	v_cmp_gt_i64_e32 vcc, v[2:3], v[4:5]
	v_cndmask_b32_e32 v3, v5, v3, vcc
	v_cndmask_b32_e32 v2, v4, v2, vcc
	ds_write_b64 v1, v[2:3]
.LBB47_6:
	s_or_b64 exec, exec, s[0:1]
	v_cmp_gt_u32_e32 vcc, 16, v0
	s_waitcnt lgkmcnt(0)
	s_barrier
	s_and_saveexec_b64 s[0:1], vcc
	s_cbranch_execz .LBB47_8
; %bb.7:
	ds_read2_b64 v[2:5], v1 offset1:16
	s_waitcnt lgkmcnt(0)
	v_cmp_gt_i64_e32 vcc, v[2:3], v[4:5]
	v_cndmask_b32_e32 v3, v5, v3, vcc
	v_cndmask_b32_e32 v2, v4, v2, vcc
	ds_write_b64 v1, v[2:3]
.LBB47_8:
	;; [unrolled: 14-line block ×5, first 2 shown]
	s_or_b64 exec, exec, s[0:1]
	v_cmp_eq_u32_e32 vcc, 0, v0
	s_waitcnt lgkmcnt(0)
	s_barrier
	s_and_saveexec_b64 s[4:5], vcc
	s_cbranch_execz .LBB47_16
; %bb.15:
	v_mov_b32_e32 v4, 0
	ds_read_b128 v[0:3], v4
	s_waitcnt lgkmcnt(0)
	v_cmp_gt_i64_e64 s[0:1], v[0:1], v[2:3]
	v_cndmask_b32_e64 v1, v3, v1, s[0:1]
	v_cndmask_b32_e64 v0, v2, v0, s[0:1]
	ds_write_b64 v4, v[0:1]
.LBB47_16:
	s_or_b64 exec, exec, s[4:5]
	s_waitcnt lgkmcnt(0)
	s_barrier
	s_and_saveexec_b64 s[0:1], vcc
	s_cbranch_execz .LBB47_18
; %bb.17:
	v_mov_b32_e32 v2, 0
	ds_read_b64 v[0:1], v2
	s_waitcnt lgkmcnt(0)
	global_store_dwordx2 v2, v[0:1], s[2:3]
.LBB47_18:
	s_endpgm
	.section	.rodata,"a",@progbits
	.p2align	6, 0x0
	.amdhsa_kernel _ZN9rocsparseL34csrgemm_symbolic_max_row_nnz_part2ILj256ElEEvPT0_
		.amdhsa_group_segment_fixed_size 2048
		.amdhsa_private_segment_fixed_size 0
		.amdhsa_kernarg_size 8
		.amdhsa_user_sgpr_count 6
		.amdhsa_user_sgpr_private_segment_buffer 1
		.amdhsa_user_sgpr_dispatch_ptr 0
		.amdhsa_user_sgpr_queue_ptr 0
		.amdhsa_user_sgpr_kernarg_segment_ptr 1
		.amdhsa_user_sgpr_dispatch_id 0
		.amdhsa_user_sgpr_flat_scratch_init 0
		.amdhsa_user_sgpr_private_segment_size 0
		.amdhsa_uses_dynamic_stack 0
		.amdhsa_system_sgpr_private_segment_wavefront_offset 0
		.amdhsa_system_sgpr_workgroup_id_x 1
		.amdhsa_system_sgpr_workgroup_id_y 0
		.amdhsa_system_sgpr_workgroup_id_z 0
		.amdhsa_system_sgpr_workgroup_info 0
		.amdhsa_system_vgpr_workitem_id 0
		.amdhsa_next_free_vgpr 6
		.amdhsa_next_free_sgpr 6
		.amdhsa_reserve_vcc 1
		.amdhsa_reserve_flat_scratch 0
		.amdhsa_float_round_mode_32 0
		.amdhsa_float_round_mode_16_64 0
		.amdhsa_float_denorm_mode_32 3
		.amdhsa_float_denorm_mode_16_64 3
		.amdhsa_dx10_clamp 1
		.amdhsa_ieee_mode 1
		.amdhsa_fp16_overflow 0
		.amdhsa_exception_fp_ieee_invalid_op 0
		.amdhsa_exception_fp_denorm_src 0
		.amdhsa_exception_fp_ieee_div_zero 0
		.amdhsa_exception_fp_ieee_overflow 0
		.amdhsa_exception_fp_ieee_underflow 0
		.amdhsa_exception_fp_ieee_inexact 0
		.amdhsa_exception_int_div_zero 0
	.end_amdhsa_kernel
	.section	.text._ZN9rocsparseL34csrgemm_symbolic_max_row_nnz_part2ILj256ElEEvPT0_,"axG",@progbits,_ZN9rocsparseL34csrgemm_symbolic_max_row_nnz_part2ILj256ElEEvPT0_,comdat
.Lfunc_end47:
	.size	_ZN9rocsparseL34csrgemm_symbolic_max_row_nnz_part2ILj256ElEEvPT0_, .Lfunc_end47-_ZN9rocsparseL34csrgemm_symbolic_max_row_nnz_part2ILj256ElEEvPT0_
                                        ; -- End function
	.set _ZN9rocsparseL34csrgemm_symbolic_max_row_nnz_part2ILj256ElEEvPT0_.num_vgpr, 6
	.set _ZN9rocsparseL34csrgemm_symbolic_max_row_nnz_part2ILj256ElEEvPT0_.num_agpr, 0
	.set _ZN9rocsparseL34csrgemm_symbolic_max_row_nnz_part2ILj256ElEEvPT0_.numbered_sgpr, 6
	.set _ZN9rocsparseL34csrgemm_symbolic_max_row_nnz_part2ILj256ElEEvPT0_.num_named_barrier, 0
	.set _ZN9rocsparseL34csrgemm_symbolic_max_row_nnz_part2ILj256ElEEvPT0_.private_seg_size, 0
	.set _ZN9rocsparseL34csrgemm_symbolic_max_row_nnz_part2ILj256ElEEvPT0_.uses_vcc, 1
	.set _ZN9rocsparseL34csrgemm_symbolic_max_row_nnz_part2ILj256ElEEvPT0_.uses_flat_scratch, 0
	.set _ZN9rocsparseL34csrgemm_symbolic_max_row_nnz_part2ILj256ElEEvPT0_.has_dyn_sized_stack, 0
	.set _ZN9rocsparseL34csrgemm_symbolic_max_row_nnz_part2ILj256ElEEvPT0_.has_recursion, 0
	.set _ZN9rocsparseL34csrgemm_symbolic_max_row_nnz_part2ILj256ElEEvPT0_.has_indirect_call, 0
	.section	.AMDGPU.csdata,"",@progbits
; Kernel info:
; codeLenInByte = 548
; TotalNumSgprs: 10
; NumVgprs: 6
; ScratchSize: 0
; MemoryBound: 0
; FloatMode: 240
; IeeeMode: 1
; LDSByteSize: 2048 bytes/workgroup (compile time only)
; SGPRBlocks: 1
; VGPRBlocks: 1
; NumSGPRsForWavesPerEU: 10
; NumVGPRsForWavesPerEU: 6
; Occupancy: 10
; WaveLimiterHint : 0
; COMPUTE_PGM_RSRC2:SCRATCH_EN: 0
; COMPUTE_PGM_RSRC2:USER_SGPR: 6
; COMPUTE_PGM_RSRC2:TRAP_HANDLER: 0
; COMPUTE_PGM_RSRC2:TGID_X_EN: 1
; COMPUTE_PGM_RSRC2:TGID_Y_EN: 0
; COMPUTE_PGM_RSRC2:TGID_Z_EN: 0
; COMPUTE_PGM_RSRC2:TIDIG_COMP_CNT: 0
	.section	.text._ZN9rocsparseL35csrgemm_symbolic_group_reduce_part2ILj256ELj11EllEEvT2_PKT1_PS1_Pij,"axG",@progbits,_ZN9rocsparseL35csrgemm_symbolic_group_reduce_part2ILj256ELj11EllEEvT2_PKT1_PS1_Pij,comdat
	.globl	_ZN9rocsparseL35csrgemm_symbolic_group_reduce_part2ILj256ELj11EllEEvT2_PKT1_PS1_Pij ; -- Begin function _ZN9rocsparseL35csrgemm_symbolic_group_reduce_part2ILj256ELj11EllEEvT2_PKT1_PS1_Pij
	.p2align	8
	.type	_ZN9rocsparseL35csrgemm_symbolic_group_reduce_part2ILj256ELj11EllEEvT2_PKT1_PS1_Pij,@function
_ZN9rocsparseL35csrgemm_symbolic_group_reduce_part2ILj256ELj11EllEEvT2_PKT1_PS1_Pij: ; @_ZN9rocsparseL35csrgemm_symbolic_group_reduce_part2ILj256ELj11EllEEvT2_PKT1_PS1_Pij
; %bb.0:
	s_mov_b32 s11, 0
	s_mov_b32 s10, s11
	;; [unrolled: 1-line block ×4, first 2 shown]
	v_mov_b32_e32 v1, s10
	v_mov_b32_e32 v4, s1
	s_load_dwordx2 s[8:9], s[4:5], 0x0
	s_load_dwordx2 s[2:3], s[4:5], 0x10
	v_mul_u32_u24_e32 v11, 0x58, v0
	v_mov_b32_e32 v2, s11
	v_mov_b32_e32 v3, s0
	ds_write2_b64 v11, v[1:2], v[3:4] offset1:1
	ds_write2_b64 v11, v[1:2], v[3:4] offset0:2 offset1:3
	ds_write2_b64 v11, v[1:2], v[3:4] offset0:4 offset1:5
	;; [unrolled: 1-line block ×4, first 2 shown]
	v_mov_b32_e32 v2, 0
	v_lshl_or_b32 v5, s6, 8, v0
	v_mov_b32_e32 v1, v2
	ds_write_b64 v11, v[1:2] offset:80
	v_mov_b32_e32 v1, v5
	s_waitcnt lgkmcnt(0)
	v_cmp_gt_i64_e32 vcc, s[8:9], v[1:2]
	s_and_saveexec_b64 s[12:13], vcc
	s_cbranch_execz .LBB48_43
; %bb.1:
	s_load_dword s7, s[4:5], 0x20
	s_load_dwordx2 s[0:1], s[4:5], 0x8
	s_load_dwordx2 s[14:15], s[4:5], 0x18
	s_load_dword s10, s[4:5], 0x28
	v_lshlrev_b64 v[3:4], 2, v[1:2]
	s_waitcnt lgkmcnt(0)
	s_cmpk_lt_u32 s7, 0x8108
	s_cselect_b64 s[28:29], -1, 0
	s_cmp_lt_u32 s7, 0x10108
	v_mov_b32_e32 v5, s15
	v_add_co_u32_e32 v3, vcc, s14, v3
	s_cselect_b64 s[34:35], -1, 0
	s_cmp_lt_u32 s7, 0x20108
	v_addc_co_u32_e32 v4, vcc, v5, v4, vcc
	v_lshlrev_b64 v[5:6], 3, v[1:2]
	s_cselect_b64 s[38:39], -1, 0
	s_cmp_lt_u32 s7, 0x40108
	s_cselect_b64 s[42:43], -1, 0
	s_lshl_b32 s10, s10, 8
	v_mov_b32_e32 v7, s1
	v_add_co_u32_e32 v5, vcc, s0, v5
	s_lshl_b64 s[4:5], s[10:11], 2
	v_addc_co_u32_e32 v6, vcc, v7, v6, vcc
	s_lshl_b64 s[14:15], s[10:11], 3
	v_mov_b32_e32 v8, v2
	s_mov_b64 s[16:17], 0
	s_mov_b64 s[18:19], 0x100
	;; [unrolled: 1-line block ×6, first 2 shown]
	s_xor_b64 s[28:29], s[28:29], -1
	v_mov_b32_e32 v12, 6
	s_mov_b64 s[30:31], 0x2001
	s_xor_b64 s[34:35], s[34:35], -1
	v_mov_b32_e32 v13, 7
	s_mov_b64 s[36:37], 0x4001
	;; [unrolled: 3-line block ×3, first 2 shown]
	s_xor_b64 s[42:43], s[42:43], -1
	v_mov_b32_e32 v15, 9
	v_mov_b32_e32 v16, 10
	;; [unrolled: 1-line block ×10, first 2 shown]
	s_branch .LBB48_3
.LBB48_2:                               ;   in Loop: Header=BB48_3 Depth=1
	s_or_b64 exec, exec, s[0:1]
	v_add_co_u32_e32 v7, vcc, s10, v7
	v_addc_co_u32_e32 v8, vcc, 0, v8, vcc
	v_cmp_le_i64_e32 vcc, s[8:9], v[7:8]
	v_add_co_u32_e64 v3, s[0:1], s4, v3
	s_or_b64 s[16:17], vcc, s[16:17]
	v_add_co_u32_e32 v5, vcc, s14, v5
	v_addc_co_u32_e64 v4, s[0:1], v4, v22, s[0:1]
	v_addc_co_u32_e32 v6, vcc, v6, v23, vcc
	s_andn2_b64 exec, exec, s[16:17]
	s_cbranch_execz .LBB48_43
.LBB48_3:                               ; =>This Inner Loop Header: Depth=1
	global_load_dwordx4 v[24:27], v[5:6], off
	s_waitcnt vmcnt(0)
	v_sub_co_u32_e32 v9, vcc, v26, v24
	v_subb_co_u32_e32 v10, vcc, v27, v25, vcc
	v_cmp_lt_i64_e32 vcc, 16, v[9:10]
	s_and_saveexec_b64 s[0:1], vcc
	s_xor_b64 s[0:1], exec, s[0:1]
	s_cbranch_execz .LBB48_41
; %bb.4:                                ;   in Loop: Header=BB48_3 Depth=1
	v_cmp_lt_u64_e32 vcc, 32, v[9:10]
	s_and_saveexec_b64 s[44:45], vcc
	s_xor_b64 s[44:45], exec, s[44:45]
	s_cbranch_execz .LBB48_38
; %bb.5:                                ;   in Loop: Header=BB48_3 Depth=1
	v_cmp_lt_u64_e32 vcc, s[18:19], v[9:10]
	;; [unrolled: 5-line block ×5, first 2 shown]
	s_and_saveexec_b64 s[52:53], vcc
	s_xor_b64 s[52:53], exec, s[52:53]
	s_cbranch_execz .LBB48_26
; %bb.9:                                ;   in Loop: Header=BB48_3 Depth=1
	v_cmp_gt_u64_e32 vcc, s[26:27], v[9:10]
	s_and_b64 s[54:55], s[28:29], vcc
	s_and_saveexec_b64 s[56:57], s[54:55]
	s_xor_b64 s[54:55], exec, s[56:57]
	s_cbranch_execz .LBB48_11
; %bb.10:                               ;   in Loop: Header=BB48_3 Depth=1
	ds_read_b64 v[9:10], v11 offset:48
	global_store_dword v[3:4], v12, off
	s_waitcnt lgkmcnt(0)
	v_add_co_u32_e32 v9, vcc, 1, v9
	v_addc_co_u32_e32 v10, vcc, 0, v10, vcc
	ds_write_b64 v11, v[9:10] offset:48
                                        ; implicit-def: $vgpr9_vgpr10
.LBB48_11:                              ;   in Loop: Header=BB48_3 Depth=1
	s_andn2_saveexec_b64 s[54:55], s[54:55]
	s_cbranch_execz .LBB48_25
; %bb.12:                               ;   in Loop: Header=BB48_3 Depth=1
	v_cmp_gt_u64_e32 vcc, s[30:31], v[9:10]
	s_and_b64 s[56:57], s[34:35], vcc
	s_and_saveexec_b64 s[58:59], s[56:57]
	s_xor_b64 s[56:57], exec, s[58:59]
	s_cbranch_execz .LBB48_14
; %bb.13:                               ;   in Loop: Header=BB48_3 Depth=1
	ds_read_b64 v[9:10], v11 offset:56
	global_store_dword v[3:4], v13, off
	s_waitcnt lgkmcnt(0)
	v_add_co_u32_e32 v9, vcc, 1, v9
	v_addc_co_u32_e32 v10, vcc, 0, v10, vcc
	ds_write_b64 v11, v[9:10] offset:56
                                        ; implicit-def: $vgpr9_vgpr10
.LBB48_14:                              ;   in Loop: Header=BB48_3 Depth=1
	s_andn2_saveexec_b64 s[56:57], s[56:57]
	s_cbranch_execz .LBB48_24
; %bb.15:                               ;   in Loop: Header=BB48_3 Depth=1
	v_cmp_gt_u64_e32 vcc, s[36:37], v[9:10]
	s_and_b64 s[58:59], s[38:39], vcc
	s_and_saveexec_b64 s[60:61], s[58:59]
	s_xor_b64 s[58:59], exec, s[60:61]
	s_cbranch_execz .LBB48_17
; %bb.16:                               ;   in Loop: Header=BB48_3 Depth=1
	ds_read_b64 v[9:10], v11 offset:64
	global_store_dword v[3:4], v14, off
	s_waitcnt lgkmcnt(0)
	v_add_co_u32_e32 v9, vcc, 1, v9
	v_addc_co_u32_e32 v10, vcc, 0, v10, vcc
	ds_write_b64 v11, v[9:10] offset:64
                                        ; implicit-def: $vgpr9_vgpr10
.LBB48_17:                              ;   in Loop: Header=BB48_3 Depth=1
	s_andn2_saveexec_b64 s[58:59], s[58:59]
	s_cbranch_execz .LBB48_23
; %bb.18:                               ;   in Loop: Header=BB48_3 Depth=1
	v_cmp_gt_u64_e32 vcc, s[40:41], v[9:10]
	s_and_b64 s[60:61], s[42:43], vcc
	s_and_saveexec_b64 s[62:63], s[60:61]
	s_xor_b64 s[60:61], exec, s[62:63]
	s_cbranch_execz .LBB48_20
; %bb.19:                               ;   in Loop: Header=BB48_3 Depth=1
	ds_read_b64 v[9:10], v11 offset:72
	global_store_dword v[3:4], v15, off
	s_waitcnt lgkmcnt(0)
	v_add_co_u32_e32 v9, vcc, 1, v9
	v_addc_co_u32_e32 v10, vcc, 0, v10, vcc
	ds_write_b64 v11, v[9:10] offset:72
.LBB48_20:                              ;   in Loop: Header=BB48_3 Depth=1
	s_andn2_saveexec_b64 s[60:61], s[60:61]
	s_cbranch_execz .LBB48_22
; %bb.21:                               ;   in Loop: Header=BB48_3 Depth=1
	ds_read_b64 v[9:10], v11 offset:80
	global_store_dword v[3:4], v16, off
	s_waitcnt lgkmcnt(0)
	v_add_co_u32_e32 v9, vcc, 1, v9
	v_addc_co_u32_e32 v10, vcc, 0, v10, vcc
	ds_write_b64 v11, v[9:10] offset:80
.LBB48_22:                              ;   in Loop: Header=BB48_3 Depth=1
	s_or_b64 exec, exec, s[60:61]
.LBB48_23:                              ;   in Loop: Header=BB48_3 Depth=1
	s_or_b64 exec, exec, s[58:59]
.LBB48_24:                              ;   in Loop: Header=BB48_3 Depth=1
	s_or_b64 exec, exec, s[56:57]
.LBB48_25:                              ;   in Loop: Header=BB48_3 Depth=1
	s_or_b64 exec, exec, s[54:55]
.LBB48_26:                              ;   in Loop: Header=BB48_3 Depth=1
	s_andn2_saveexec_b64 s[52:53], s[52:53]
	s_cbranch_execz .LBB48_28
; %bb.27:                               ;   in Loop: Header=BB48_3 Depth=1
	ds_read_b64 v[9:10], v11 offset:40
	global_store_dword v[3:4], v17, off
	s_waitcnt lgkmcnt(0)
	v_add_co_u32_e32 v9, vcc, 1, v9
	v_addc_co_u32_e32 v10, vcc, 0, v10, vcc
	ds_write_b64 v11, v[9:10] offset:40
.LBB48_28:                              ;   in Loop: Header=BB48_3 Depth=1
	s_or_b64 exec, exec, s[52:53]
.LBB48_29:                              ;   in Loop: Header=BB48_3 Depth=1
	s_andn2_saveexec_b64 s[50:51], s[50:51]
	s_cbranch_execz .LBB48_31
; %bb.30:                               ;   in Loop: Header=BB48_3 Depth=1
	ds_read_b64 v[9:10], v11 offset:32
	global_store_dword v[3:4], v18, off
	s_waitcnt lgkmcnt(0)
	v_add_co_u32_e32 v9, vcc, 1, v9
	v_addc_co_u32_e32 v10, vcc, 0, v10, vcc
	ds_write_b64 v11, v[9:10] offset:32
.LBB48_31:                              ;   in Loop: Header=BB48_3 Depth=1
	s_or_b64 exec, exec, s[50:51]
.LBB48_32:                              ;   in Loop: Header=BB48_3 Depth=1
	s_andn2_saveexec_b64 s[48:49], s[48:49]
	s_cbranch_execz .LBB48_34
; %bb.33:                               ;   in Loop: Header=BB48_3 Depth=1
	ds_read_b64 v[9:10], v11 offset:24
	global_store_dword v[3:4], v19, off
	s_waitcnt lgkmcnt(0)
	v_add_co_u32_e32 v9, vcc, 1, v9
	v_addc_co_u32_e32 v10, vcc, 0, v10, vcc
	ds_write_b64 v11, v[9:10] offset:24
.LBB48_34:                              ;   in Loop: Header=BB48_3 Depth=1
	s_or_b64 exec, exec, s[48:49]
.LBB48_35:                              ;   in Loop: Header=BB48_3 Depth=1
	s_andn2_saveexec_b64 s[46:47], s[46:47]
	s_cbranch_execz .LBB48_37
; %bb.36:                               ;   in Loop: Header=BB48_3 Depth=1
	ds_read_b64 v[9:10], v11 offset:16
	global_store_dword v[3:4], v20, off
	s_waitcnt lgkmcnt(0)
	v_add_co_u32_e32 v9, vcc, 1, v9
	v_addc_co_u32_e32 v10, vcc, 0, v10, vcc
	ds_write_b64 v11, v[9:10] offset:16
.LBB48_37:                              ;   in Loop: Header=BB48_3 Depth=1
	s_or_b64 exec, exec, s[46:47]
.LBB48_38:                              ;   in Loop: Header=BB48_3 Depth=1
	s_andn2_saveexec_b64 s[44:45], s[44:45]
	s_cbranch_execz .LBB48_40
; %bb.39:                               ;   in Loop: Header=BB48_3 Depth=1
	ds_read_b64 v[9:10], v11 offset:8
	global_store_dword v[3:4], v21, off
	s_waitcnt lgkmcnt(0)
	v_add_co_u32_e32 v9, vcc, 1, v9
	v_addc_co_u32_e32 v10, vcc, 0, v10, vcc
	ds_write_b64 v11, v[9:10] offset:8
.LBB48_40:                              ;   in Loop: Header=BB48_3 Depth=1
	s_or_b64 exec, exec, s[44:45]
.LBB48_41:                              ;   in Loop: Header=BB48_3 Depth=1
	s_andn2_saveexec_b64 s[0:1], s[0:1]
	s_cbranch_execz .LBB48_2
; %bb.42:                               ;   in Loop: Header=BB48_3 Depth=1
	ds_read_b64 v[9:10], v11
	global_store_dword v[3:4], v2, off
	s_waitcnt lgkmcnt(0)
	v_add_co_u32_e32 v9, vcc, 1, v9
	v_addc_co_u32_e32 v10, vcc, 0, v10, vcc
	ds_write_b64 v11, v[9:10]
	s_branch .LBB48_2
.LBB48_43:
	s_or_b64 exec, exec, s[12:13]
	s_movk_i32 s0, 0x80
	v_cmp_gt_u32_e32 vcc, s0, v0
	s_waitcnt vmcnt(0) lgkmcnt(0)
	s_barrier
	s_barrier
	;; [unrolled: 1-line block ×3, first 2 shown]
	s_and_saveexec_b64 s[0:1], vcc
	s_cbranch_execz .LBB48_45
; %bb.44:
	v_add_u32_e32 v1, 0x2c00, v11
	ds_read2_b64 v[1:4], v1 offset1:1
	ds_read2_b64 v[5:8], v11 offset1:1
	ds_read2_b64 v[12:15], v11 offset0:2 offset1:3
	ds_read2_b64 v[16:19], v11 offset0:8 offset1:9
	;; [unrolled: 1-line block ×3, first 2 shown]
	s_waitcnt lgkmcnt(3)
	v_add_co_u32_e32 v5, vcc, v5, v1
	v_addc_co_u32_e32 v6, vcc, v6, v2, vcc
	v_add_co_u32_e32 v7, vcc, v7, v3
	v_add_u32_e32 v1, 0x2c10, v11
	v_addc_co_u32_e32 v8, vcc, v8, v4, vcc
	ds_read2_b64 v[1:4], v1 offset1:1
	ds_write2_b64 v11, v[5:6], v[7:8] offset1:1
	v_add_u32_e32 v5, 0x2c20, v11
	ds_read2_b64 v[5:8], v5 offset1:1
	s_waitcnt lgkmcnt(2)
	v_add_co_u32_e32 v1, vcc, v12, v1
	v_addc_co_u32_e32 v2, vcc, v13, v2, vcc
	v_add_co_u32_e32 v3, vcc, v14, v3
	v_addc_co_u32_e32 v4, vcc, v15, v4, vcc
	ds_write2_b64 v11, v[1:2], v[3:4] offset0:2 offset1:3
	ds_read2_b64 v[1:4], v11 offset0:6 offset1:7
	s_waitcnt lgkmcnt(2)
	v_add_co_u32_e32 v9, vcc, v20, v5
	v_addc_co_u32_e32 v10, vcc, v21, v6, vcc
	v_add_co_u32_e32 v12, vcc, v22, v7
	v_add_u32_e32 v5, 0x2c30, v11
	v_addc_co_u32_e32 v13, vcc, v23, v8, vcc
	ds_read2_b64 v[5:8], v5 offset1:1
	ds_write2_b64 v11, v[9:10], v[12:13] offset0:4 offset1:5
	v_add_u32_e32 v9, 0x2c40, v11
	ds_read2_b64 v[12:15], v9 offset1:1
	s_waitcnt lgkmcnt(2)
	v_add_co_u32_e32 v1, vcc, v1, v5
	v_addc_co_u32_e32 v2, vcc, v2, v6, vcc
	v_add_co_u32_e32 v3, vcc, v3, v7
	v_addc_co_u32_e32 v4, vcc, v4, v8, vcc
	ds_write2_b64 v11, v[1:2], v[3:4] offset0:6 offset1:7
	v_add_u32_e32 v1, 0x50, v11
	ds_read2st64_b64 v[1:4], v1 offset1:22
	s_waitcnt lgkmcnt(2)
	v_add_co_u32_e32 v5, vcc, v16, v12
	v_addc_co_u32_e32 v6, vcc, v17, v13, vcc
	v_add_co_u32_e32 v7, vcc, v18, v14
	v_addc_co_u32_e32 v8, vcc, v19, v15, vcc
	s_waitcnt lgkmcnt(0)
	v_add_co_u32_e32 v1, vcc, v1, v3
	v_addc_co_u32_e32 v2, vcc, v2, v4, vcc
	ds_write2_b64 v11, v[5:6], v[7:8] offset0:8 offset1:9
	ds_write_b64 v11, v[1:2] offset:80
.LBB48_45:
	s_or_b64 exec, exec, s[0:1]
	v_cmp_gt_u32_e32 vcc, 64, v0
	s_waitcnt lgkmcnt(0)
	s_barrier
	s_and_saveexec_b64 s[0:1], vcc
	s_cbranch_execz .LBB48_47
; %bb.46:
	v_add_u32_e32 v1, 0x1600, v11
	ds_read2_b64 v[1:4], v1 offset1:1
	ds_read2_b64 v[5:8], v11 offset1:1
	ds_read2_b64 v[12:15], v11 offset0:2 offset1:3
	ds_read2_b64 v[16:19], v11 offset0:8 offset1:9
	;; [unrolled: 1-line block ×3, first 2 shown]
	s_waitcnt lgkmcnt(3)
	v_add_co_u32_e32 v5, vcc, v5, v1
	v_addc_co_u32_e32 v6, vcc, v6, v2, vcc
	v_add_co_u32_e32 v7, vcc, v7, v3
	v_add_u32_e32 v1, 0x1610, v11
	v_addc_co_u32_e32 v8, vcc, v8, v4, vcc
	ds_read2_b64 v[1:4], v1 offset1:1
	ds_write2_b64 v11, v[5:6], v[7:8] offset1:1
	v_add_u32_e32 v5, 0x1620, v11
	ds_read2_b64 v[5:8], v5 offset1:1
	s_waitcnt lgkmcnt(2)
	v_add_co_u32_e32 v1, vcc, v12, v1
	v_addc_co_u32_e32 v2, vcc, v13, v2, vcc
	v_add_co_u32_e32 v3, vcc, v14, v3
	v_addc_co_u32_e32 v4, vcc, v15, v4, vcc
	ds_write2_b64 v11, v[1:2], v[3:4] offset0:2 offset1:3
	ds_read2_b64 v[1:4], v11 offset0:6 offset1:7
	s_waitcnt lgkmcnt(2)
	v_add_co_u32_e32 v9, vcc, v20, v5
	v_addc_co_u32_e32 v10, vcc, v21, v6, vcc
	v_add_co_u32_e32 v12, vcc, v22, v7
	v_add_u32_e32 v5, 0x1630, v11
	v_addc_co_u32_e32 v13, vcc, v23, v8, vcc
	ds_read2_b64 v[5:8], v5 offset1:1
	ds_write2_b64 v11, v[9:10], v[12:13] offset0:4 offset1:5
	v_add_u32_e32 v9, 0x1640, v11
	ds_read2_b64 v[12:15], v9 offset1:1
	s_waitcnt lgkmcnt(2)
	v_add_co_u32_e32 v1, vcc, v1, v5
	v_addc_co_u32_e32 v2, vcc, v2, v6, vcc
	v_add_co_u32_e32 v3, vcc, v3, v7
	v_addc_co_u32_e32 v4, vcc, v4, v8, vcc
	ds_write2_b64 v11, v[1:2], v[3:4] offset0:6 offset1:7
	v_add_u32_e32 v1, 0x50, v11
	ds_read2st64_b64 v[1:4], v1 offset1:11
	s_waitcnt lgkmcnt(2)
	v_add_co_u32_e32 v5, vcc, v16, v12
	v_addc_co_u32_e32 v6, vcc, v17, v13, vcc
	v_add_co_u32_e32 v7, vcc, v18, v14
	v_addc_co_u32_e32 v8, vcc, v19, v15, vcc
	s_waitcnt lgkmcnt(0)
	v_add_co_u32_e32 v1, vcc, v1, v3
	v_addc_co_u32_e32 v2, vcc, v2, v4, vcc
	ds_write2_b64 v11, v[5:6], v[7:8] offset0:8 offset1:9
	ds_write_b64 v11, v[1:2] offset:80
.LBB48_47:
	s_or_b64 exec, exec, s[0:1]
	v_cmp_gt_u32_e32 vcc, 32, v0
	s_waitcnt lgkmcnt(0)
	s_barrier
	s_and_saveexec_b64 s[0:1], vcc
	s_cbranch_execz .LBB48_49
; %bb.48:
	v_add_u32_e32 v1, 0xb00, v11
	ds_read2_b64 v[1:4], v1 offset1:1
	ds_read2_b64 v[5:8], v11 offset1:1
	ds_read2_b64 v[12:15], v11 offset0:2 offset1:3
	ds_read_b64 v[9:10], v11 offset:2896
	ds_read2_b64 v[16:19], v11 offset0:4 offset1:5
	s_waitcnt lgkmcnt(3)
	v_add_co_u32_e32 v5, vcc, v5, v1
	v_addc_co_u32_e32 v6, vcc, v6, v2, vcc
	v_add_co_u32_e32 v7, vcc, v7, v3
	v_add_u32_e32 v1, 0xb10, v11
	v_addc_co_u32_e32 v8, vcc, v8, v4, vcc
	ds_read2_b64 v[1:4], v1 offset1:1
	ds_write2_b64 v11, v[5:6], v[7:8] offset1:1
	v_add_u32_e32 v5, 0xb20, v11
	ds_read2_b64 v[5:8], v5 offset1:1
	s_waitcnt lgkmcnt(2)
	v_add_co_u32_e32 v1, vcc, v12, v1
	v_addc_co_u32_e32 v2, vcc, v13, v2, vcc
	v_add_co_u32_e32 v3, vcc, v14, v3
	v_addc_co_u32_e32 v4, vcc, v15, v4, vcc
	s_waitcnt lgkmcnt(0)
	v_add_co_u32_e32 v12, vcc, v16, v5
	v_addc_co_u32_e32 v13, vcc, v17, v6, vcc
	v_add_co_u32_e32 v14, vcc, v18, v7
	v_add_u32_e32 v5, 0xb30, v11
	ds_write2_b64 v11, v[1:2], v[3:4] offset0:2 offset1:3
	ds_read2_b64 v[1:4], v11 offset0:6 offset1:7
	v_addc_co_u32_e32 v15, vcc, v19, v8, vcc
	ds_read2_b64 v[5:8], v5 offset1:1
	ds_write2_b64 v11, v[12:13], v[14:15] offset0:4 offset1:5
	v_add_u32_e32 v12, 0xb40, v11
	ds_read2_b64 v[12:15], v12 offset1:1
	ds_read2_b64 v[16:19], v11 offset0:8 offset1:9
	s_waitcnt lgkmcnt(3)
	v_add_co_u32_e32 v1, vcc, v1, v5
	v_addc_co_u32_e32 v2, vcc, v2, v6, vcc
	v_add_co_u32_e32 v3, vcc, v3, v7
	v_addc_co_u32_e32 v4, vcc, v4, v8, vcc
	ds_write2_b64 v11, v[1:2], v[3:4] offset0:6 offset1:7
	ds_read_b64 v[1:2], v11 offset:80
	s_waitcnt lgkmcnt(2)
	v_add_co_u32_e32 v3, vcc, v16, v12
	v_addc_co_u32_e32 v4, vcc, v17, v13, vcc
	v_add_co_u32_e32 v5, vcc, v18, v14
	v_addc_co_u32_e32 v6, vcc, v19, v15, vcc
	s_waitcnt lgkmcnt(0)
	v_add_co_u32_e32 v1, vcc, v1, v9
	v_addc_co_u32_e32 v2, vcc, v2, v10, vcc
	ds_write2_b64 v11, v[3:4], v[5:6] offset0:8 offset1:9
	ds_write_b64 v11, v[1:2] offset:80
.LBB48_49:
	s_or_b64 exec, exec, s[0:1]
	v_cmp_gt_u32_e32 vcc, 16, v0
	s_waitcnt lgkmcnt(0)
	s_barrier
	s_and_saveexec_b64 s[0:1], vcc
	s_cbranch_execz .LBB48_51
; %bb.50:
	ds_read2_b64 v[1:4], v11 offset0:176 offset1:177
	ds_read2_b64 v[5:8], v11 offset1:1
	ds_read2_b64 v[12:15], v11 offset0:2 offset1:3
	ds_read2_b64 v[16:19], v11 offset0:8 offset1:9
	ds_read2_b64 v[20:23], v11 offset0:178 offset1:179
	s_waitcnt lgkmcnt(3)
	v_add_co_u32_e32 v1, vcc, v5, v1
	v_addc_co_u32_e32 v2, vcc, v6, v2, vcc
	v_add_co_u32_e32 v3, vcc, v7, v3
	v_addc_co_u32_e32 v4, vcc, v8, v4, vcc
	ds_write2_b64 v11, v[1:2], v[3:4] offset1:1
	ds_read2_b64 v[1:4], v11 offset0:180 offset1:181
	s_waitcnt lgkmcnt(2)
	v_add_co_u32_e32 v9, vcc, v12, v20
	ds_read2_b64 v[5:8], v11 offset0:4 offset1:5
	v_addc_co_u32_e32 v10, vcc, v13, v21, vcc
	v_add_co_u32_e32 v12, vcc, v14, v22
	v_addc_co_u32_e32 v13, vcc, v15, v23, vcc
	ds_write2_b64 v11, v[9:10], v[12:13] offset0:2 offset1:3
	ds_read2_b64 v[12:15], v11 offset0:6 offset1:7
	ds_read2_b64 v[20:23], v11 offset0:182 offset1:183
	s_waitcnt lgkmcnt(3)
	v_add_co_u32_e32 v1, vcc, v5, v1
	v_addc_co_u32_e32 v2, vcc, v6, v2, vcc
	v_add_co_u32_e32 v3, vcc, v7, v3
	v_addc_co_u32_e32 v4, vcc, v8, v4, vcc
	ds_write2_b64 v11, v[1:2], v[3:4] offset0:4 offset1:5
	ds_read2_b64 v[1:4], v11 offset0:184 offset1:185
	s_waitcnt lgkmcnt(2)
	v_add_co_u32_e32 v5, vcc, v12, v20
	v_addc_co_u32_e32 v6, vcc, v13, v21, vcc
	v_add_co_u32_e32 v7, vcc, v14, v22
	v_addc_co_u32_e32 v8, vcc, v15, v23, vcc
	ds_write2_b64 v11, v[5:6], v[7:8] offset0:6 offset1:7
	ds_read2_b64 v[5:8], v11 offset0:10 offset1:186
	s_waitcnt lgkmcnt(2)
	v_add_co_u32_e32 v1, vcc, v16, v1
	v_addc_co_u32_e32 v2, vcc, v17, v2, vcc
	v_add_co_u32_e32 v3, vcc, v18, v3
	v_addc_co_u32_e32 v4, vcc, v19, v4, vcc
	ds_write2_b64 v11, v[1:2], v[3:4] offset0:8 offset1:9
	s_waitcnt lgkmcnt(1)
	v_add_co_u32_e32 v1, vcc, v5, v7
	v_addc_co_u32_e32 v2, vcc, v6, v8, vcc
	ds_write_b64 v11, v[1:2] offset:80
.LBB48_51:
	s_or_b64 exec, exec, s[0:1]
	v_cmp_gt_u32_e32 vcc, 8, v0
	s_waitcnt lgkmcnt(0)
	s_barrier
	s_and_saveexec_b64 s[0:1], vcc
	s_cbranch_execz .LBB48_53
; %bb.52:
	ds_read2_b64 v[1:4], v11 offset0:88 offset1:89
	ds_read2_b64 v[5:8], v11 offset1:1
	ds_read2_b64 v[12:15], v11 offset0:2 offset1:3
	ds_read2_b64 v[16:19], v11 offset0:8 offset1:9
	ds_read2_b64 v[20:23], v11 offset0:90 offset1:91
	s_waitcnt lgkmcnt(3)
	v_add_co_u32_e32 v1, vcc, v5, v1
	v_addc_co_u32_e32 v2, vcc, v6, v2, vcc
	v_add_co_u32_e32 v3, vcc, v7, v3
	v_addc_co_u32_e32 v4, vcc, v8, v4, vcc
	ds_write2_b64 v11, v[1:2], v[3:4] offset1:1
	ds_read2_b64 v[1:4], v11 offset0:92 offset1:93
	s_waitcnt lgkmcnt(2)
	v_add_co_u32_e32 v9, vcc, v12, v20
	ds_read2_b64 v[5:8], v11 offset0:4 offset1:5
	v_addc_co_u32_e32 v10, vcc, v13, v21, vcc
	v_add_co_u32_e32 v12, vcc, v14, v22
	v_addc_co_u32_e32 v13, vcc, v15, v23, vcc
	ds_write2_b64 v11, v[9:10], v[12:13] offset0:2 offset1:3
	ds_read2_b64 v[12:15], v11 offset0:6 offset1:7
	ds_read2_b64 v[20:23], v11 offset0:94 offset1:95
	s_waitcnt lgkmcnt(3)
	v_add_co_u32_e32 v1, vcc, v5, v1
	v_addc_co_u32_e32 v2, vcc, v6, v2, vcc
	v_add_co_u32_e32 v3, vcc, v7, v3
	v_addc_co_u32_e32 v4, vcc, v8, v4, vcc
	ds_write2_b64 v11, v[1:2], v[3:4] offset0:4 offset1:5
	ds_read2_b64 v[1:4], v11 offset0:96 offset1:97
	s_waitcnt lgkmcnt(2)
	v_add_co_u32_e32 v5, vcc, v12, v20
	v_addc_co_u32_e32 v6, vcc, v13, v21, vcc
	v_add_co_u32_e32 v7, vcc, v14, v22
	v_addc_co_u32_e32 v8, vcc, v15, v23, vcc
	ds_write2_b64 v11, v[5:6], v[7:8] offset0:6 offset1:7
	ds_read2_b64 v[5:8], v11 offset0:10 offset1:98
	s_waitcnt lgkmcnt(2)
	v_add_co_u32_e32 v1, vcc, v16, v1
	v_addc_co_u32_e32 v2, vcc, v17, v2, vcc
	v_add_co_u32_e32 v3, vcc, v18, v3
	v_addc_co_u32_e32 v4, vcc, v19, v4, vcc
	ds_write2_b64 v11, v[1:2], v[3:4] offset0:8 offset1:9
	s_waitcnt lgkmcnt(1)
	v_add_co_u32_e32 v1, vcc, v5, v7
	v_addc_co_u32_e32 v2, vcc, v6, v8, vcc
	ds_write_b64 v11, v[1:2] offset:80
.LBB48_53:
	;; [unrolled: 53-line block ×4, first 2 shown]
	s_or_b64 exec, exec, s[0:1]
	v_cmp_eq_u32_e32 vcc, 0, v0
	s_waitcnt lgkmcnt(0)
	s_barrier
	s_and_saveexec_b64 s[0:1], vcc
	s_cbranch_execz .LBB48_59
; %bb.58:
	v_mov_b32_e32 v33, 0
	ds_read_b128 v[1:4], v33 offset:80
	ds_read_b128 v[5:8], v33
	ds_read_b128 v[9:12], v33 offset:16
	ds_read_b128 v[13:16], v33 offset:32
	;; [unrolled: 1-line block ×5, first 2 shown]
	s_waitcnt lgkmcnt(5)
	v_add_co_u32_e32 v3, vcc, v5, v3
	v_addc_co_u32_e32 v4, vcc, v6, v4, vcc
	ds_read_b128 v[29:32], v33 offset:112
	s_waitcnt lgkmcnt(2)
	v_add_co_u32_e32 v5, vcc, v7, v21
	v_addc_co_u32_e32 v6, vcc, v8, v22, vcc
	ds_write_b128 v33, v[3:6]
	v_add_co_u32_e32 v3, vcc, v9, v23
	v_addc_co_u32_e32 v4, vcc, v10, v24, vcc
	s_waitcnt lgkmcnt(1)
	v_add_co_u32_e32 v5, vcc, v11, v29
	v_addc_co_u32_e32 v6, vcc, v12, v30, vcc
	ds_write_b128 v33, v[3:6] offset:16
	ds_read_b128 v[3:6], v33 offset:128
	v_add_co_u32_e32 v7, vcc, v13, v31
	v_addc_co_u32_e32 v8, vcc, v14, v32, vcc
	ds_read_b128 v[11:14], v33 offset:144
	s_waitcnt lgkmcnt(1)
	v_add_co_u32_e32 v9, vcc, v15, v3
	v_addc_co_u32_e32 v10, vcc, v16, v4, vcc
	v_add_co_u32_e32 v3, vcc, v17, v5
	v_addc_co_u32_e32 v4, vcc, v18, v6, vcc
	s_waitcnt lgkmcnt(0)
	v_add_co_u32_e32 v5, vcc, v19, v11
	v_addc_co_u32_e32 v6, vcc, v20, v12, vcc
	ds_write_b128 v33, v[3:6] offset:48
	ds_read_b128 v[3:6], v33 offset:160
	ds_write_b128 v33, v[7:10] offset:32
	v_add_co_u32_e32 v7, vcc, v25, v13
	v_addc_co_u32_e32 v8, vcc, v26, v14, vcc
	s_waitcnt lgkmcnt(1)
	v_add_co_u32_e32 v9, vcc, v27, v3
	v_addc_co_u32_e32 v10, vcc, v28, v4, vcc
	v_add_co_u32_e32 v1, vcc, v1, v5
	v_addc_co_u32_e32 v2, vcc, v2, v6, vcc
	ds_write_b128 v33, v[7:10] offset:64
	ds_write_b64 v33, v[1:2] offset:80
.LBB48_59:
	s_or_b64 exec, exec, s[0:1]
	v_cmp_gt_u32_e32 vcc, 11, v0
	s_waitcnt lgkmcnt(0)
	s_barrier
	s_and_saveexec_b64 s[0:1], vcc
	s_cbranch_execz .LBB48_61
; %bb.60:
	v_mad_u64_u32 v[1:2], s[0:1], s6, 11, v[0:1]
	v_lshlrev_b32_e32 v0, 3, v0
	v_mov_b32_e32 v2, 0
	ds_read_b64 v[3:4], v0
	v_lshlrev_b64 v[1:2], 3, v[1:2]
	v_mov_b32_e32 v5, s3
	v_add_co_u32_e32 v0, vcc, s2, v1
	v_addc_co_u32_e32 v1, vcc, v5, v2, vcc
	s_waitcnt lgkmcnt(0)
	global_store_dwordx2 v[0:1], v[3:4], off
.LBB48_61:
	s_endpgm
	.section	.rodata,"a",@progbits
	.p2align	6, 0x0
	.amdhsa_kernel _ZN9rocsparseL35csrgemm_symbolic_group_reduce_part2ILj256ELj11EllEEvT2_PKT1_PS1_Pij
		.amdhsa_group_segment_fixed_size 22528
		.amdhsa_private_segment_fixed_size 0
		.amdhsa_kernarg_size 296
		.amdhsa_user_sgpr_count 6
		.amdhsa_user_sgpr_private_segment_buffer 1
		.amdhsa_user_sgpr_dispatch_ptr 0
		.amdhsa_user_sgpr_queue_ptr 0
		.amdhsa_user_sgpr_kernarg_segment_ptr 1
		.amdhsa_user_sgpr_dispatch_id 0
		.amdhsa_user_sgpr_flat_scratch_init 0
		.amdhsa_user_sgpr_private_segment_size 0
		.amdhsa_uses_dynamic_stack 0
		.amdhsa_system_sgpr_private_segment_wavefront_offset 0
		.amdhsa_system_sgpr_workgroup_id_x 1
		.amdhsa_system_sgpr_workgroup_id_y 0
		.amdhsa_system_sgpr_workgroup_id_z 0
		.amdhsa_system_sgpr_workgroup_info 0
		.amdhsa_system_vgpr_workitem_id 0
		.amdhsa_next_free_vgpr 85
		.amdhsa_next_free_sgpr 98
		.amdhsa_reserve_vcc 1
		.amdhsa_reserve_flat_scratch 0
		.amdhsa_float_round_mode_32 0
		.amdhsa_float_round_mode_16_64 0
		.amdhsa_float_denorm_mode_32 3
		.amdhsa_float_denorm_mode_16_64 3
		.amdhsa_dx10_clamp 1
		.amdhsa_ieee_mode 1
		.amdhsa_fp16_overflow 0
		.amdhsa_exception_fp_ieee_invalid_op 0
		.amdhsa_exception_fp_denorm_src 0
		.amdhsa_exception_fp_ieee_div_zero 0
		.amdhsa_exception_fp_ieee_overflow 0
		.amdhsa_exception_fp_ieee_underflow 0
		.amdhsa_exception_fp_ieee_inexact 0
		.amdhsa_exception_int_div_zero 0
	.end_amdhsa_kernel
	.section	.text._ZN9rocsparseL35csrgemm_symbolic_group_reduce_part2ILj256ELj11EllEEvT2_PKT1_PS1_Pij,"axG",@progbits,_ZN9rocsparseL35csrgemm_symbolic_group_reduce_part2ILj256ELj11EllEEvT2_PKT1_PS1_Pij,comdat
.Lfunc_end48:
	.size	_ZN9rocsparseL35csrgemm_symbolic_group_reduce_part2ILj256ELj11EllEEvT2_PKT1_PS1_Pij, .Lfunc_end48-_ZN9rocsparseL35csrgemm_symbolic_group_reduce_part2ILj256ELj11EllEEvT2_PKT1_PS1_Pij
                                        ; -- End function
	.set _ZN9rocsparseL35csrgemm_symbolic_group_reduce_part2ILj256ELj11EllEEvT2_PKT1_PS1_Pij.num_vgpr, 34
	.set _ZN9rocsparseL35csrgemm_symbolic_group_reduce_part2ILj256ELj11EllEEvT2_PKT1_PS1_Pij.num_agpr, 0
	.set _ZN9rocsparseL35csrgemm_symbolic_group_reduce_part2ILj256ELj11EllEEvT2_PKT1_PS1_Pij.numbered_sgpr, 64
	.set _ZN9rocsparseL35csrgemm_symbolic_group_reduce_part2ILj256ELj11EllEEvT2_PKT1_PS1_Pij.num_named_barrier, 0
	.set _ZN9rocsparseL35csrgemm_symbolic_group_reduce_part2ILj256ELj11EllEEvT2_PKT1_PS1_Pij.private_seg_size, 0
	.set _ZN9rocsparseL35csrgemm_symbolic_group_reduce_part2ILj256ELj11EllEEvT2_PKT1_PS1_Pij.uses_vcc, 1
	.set _ZN9rocsparseL35csrgemm_symbolic_group_reduce_part2ILj256ELj11EllEEvT2_PKT1_PS1_Pij.uses_flat_scratch, 0
	.set _ZN9rocsparseL35csrgemm_symbolic_group_reduce_part2ILj256ELj11EllEEvT2_PKT1_PS1_Pij.has_dyn_sized_stack, 0
	.set _ZN9rocsparseL35csrgemm_symbolic_group_reduce_part2ILj256ELj11EllEEvT2_PKT1_PS1_Pij.has_recursion, 0
	.set _ZN9rocsparseL35csrgemm_symbolic_group_reduce_part2ILj256ELj11EllEEvT2_PKT1_PS1_Pij.has_indirect_call, 0
	.section	.AMDGPU.csdata,"",@progbits
; Kernel info:
; codeLenInByte = 3600
; TotalNumSgprs: 68
; NumVgprs: 34
; ScratchSize: 0
; MemoryBound: 0
; FloatMode: 240
; IeeeMode: 1
; LDSByteSize: 22528 bytes/workgroup (compile time only)
; SGPRBlocks: 12
; VGPRBlocks: 21
; NumSGPRsForWavesPerEU: 102
; NumVGPRsForWavesPerEU: 85
; Occupancy: 2
; WaveLimiterHint : 0
; COMPUTE_PGM_RSRC2:SCRATCH_EN: 0
; COMPUTE_PGM_RSRC2:USER_SGPR: 6
; COMPUTE_PGM_RSRC2:TRAP_HANDLER: 0
; COMPUTE_PGM_RSRC2:TGID_X_EN: 1
; COMPUTE_PGM_RSRC2:TGID_Y_EN: 0
; COMPUTE_PGM_RSRC2:TGID_Z_EN: 0
; COMPUTE_PGM_RSRC2:TIDIG_COMP_CNT: 0
	.section	.text._ZN9rocsparseL35csrgemm_symbolic_group_reduce_part3ILj256ELj11ElEEvPT1_,"axG",@progbits,_ZN9rocsparseL35csrgemm_symbolic_group_reduce_part3ILj256ELj11ElEEvPT1_,comdat
	.globl	_ZN9rocsparseL35csrgemm_symbolic_group_reduce_part3ILj256ELj11ElEEvPT1_ ; -- Begin function _ZN9rocsparseL35csrgemm_symbolic_group_reduce_part3ILj256ELj11ElEEvPT1_
	.p2align	8
	.type	_ZN9rocsparseL35csrgemm_symbolic_group_reduce_part3ILj256ELj11ElEEvPT1_,@function
_ZN9rocsparseL35csrgemm_symbolic_group_reduce_part3ILj256ELj11ElEEvPT1_: ; @_ZN9rocsparseL35csrgemm_symbolic_group_reduce_part3ILj256ELj11ElEEvPT1_
; %bb.0:
	s_load_dwordx2 s[0:1], s[4:5], 0x0
	v_lshlrev_b32_e32 v4, 3, v0
	v_or_b32_e32 v3, 0xffffff00, v0
	s_mov_b64 s[2:3], 0
	s_movk_i32 s4, 0x9ff
	s_waitcnt lgkmcnt(0)
	v_mov_b32_e32 v2, s1
	v_add_co_u32_e32 v1, vcc, s0, v4
	v_addc_co_u32_e32 v2, vcc, 0, v2, vcc
.LBB49_1:                               ; =>This Inner Loop Header: Depth=1
	global_load_dwordx2 v[5:6], v[1:2], off
	v_add_co_u32_e32 v1, vcc, 0x800, v1
	v_add_u32_e32 v3, 0x100, v3
	v_addc_co_u32_e32 v2, vcc, 0, v2, vcc
	v_cmp_lt_u32_e32 vcc, s4, v3
	s_or_b64 s[2:3], vcc, s[2:3]
	s_waitcnt vmcnt(0)
	ds_write_b64 v4, v[5:6]
	v_add_u32_e32 v4, 0x800, v4
	s_andn2_b64 exec, exec, s[2:3]
	s_cbranch_execnz .LBB49_1
; %bb.2:
	s_or_b64 exec, exec, s[2:3]
	s_movk_i32 s2, 0x80
	v_cmp_gt_u32_e32 vcc, s2, v0
	s_waitcnt lgkmcnt(0)
	s_barrier
	s_barrier
	;; [unrolled: 1-line block ×3, first 2 shown]
	s_and_saveexec_b64 s[2:3], vcc
	s_cbranch_execz .LBB49_4
; %bb.3:
	s_movk_i32 s4, 0x58
	v_mov_b32_e32 v1, 0x2c00
	v_mad_u32_u24 v1, v0, s4, v1
	v_mul_u32_u24_e32 v21, 0x58, v0
	ds_read2_b64 v[1:4], v1 offset1:1
	ds_read2_b64 v[5:8], v21 offset1:1
	ds_read2_b64 v[9:12], v21 offset0:2 offset1:3
	ds_read2_b64 v[13:16], v21 offset0:8 offset1:9
	;; [unrolled: 1-line block ×3, first 2 shown]
	s_waitcnt lgkmcnt(3)
	v_add_co_u32_e32 v1, vcc, v5, v1
	v_addc_co_u32_e32 v2, vcc, v6, v2, vcc
	v_add_co_u32_e32 v3, vcc, v7, v3
	v_addc_co_u32_e32 v4, vcc, v8, v4, vcc
	ds_write2_b64 v21, v[1:2], v[3:4] offset1:1
	v_mov_b32_e32 v1, 0x2c10
	v_mad_u32_u24 v1, v0, s4, v1
	ds_read2_b64 v[1:4], v1 offset1:1
	v_mov_b32_e32 v5, 0x2c20
	v_mad_u32_u24 v5, v0, s4, v5
	ds_read2_b64 v[5:8], v5 offset1:1
	s_waitcnt lgkmcnt(1)
	v_add_co_u32_e32 v1, vcc, v9, v1
	v_addc_co_u32_e32 v2, vcc, v10, v2, vcc
	v_add_co_u32_e32 v3, vcc, v11, v3
	v_addc_co_u32_e32 v4, vcc, v12, v4, vcc
	ds_write2_b64 v21, v[1:2], v[3:4] offset0:2 offset1:3
	ds_read2_b64 v[1:4], v21 offset0:6 offset1:7
	s_waitcnt lgkmcnt(2)
	v_add_co_u32_e32 v5, vcc, v17, v5
	v_addc_co_u32_e32 v6, vcc, v18, v6, vcc
	v_add_co_u32_e32 v7, vcc, v19, v7
	v_addc_co_u32_e32 v8, vcc, v20, v8, vcc
	ds_write2_b64 v21, v[5:6], v[7:8] offset0:4 offset1:5
	v_mov_b32_e32 v5, 0x2c30
	v_mad_u32_u24 v5, v0, s4, v5
	ds_read2_b64 v[5:8], v5 offset1:1
	v_mov_b32_e32 v9, 0x2c40
	v_mad_u32_u24 v9, v0, s4, v9
	ds_read2_b64 v[9:12], v9 offset1:1
	s_waitcnt lgkmcnt(1)
	v_add_co_u32_e32 v1, vcc, v1, v5
	v_addc_co_u32_e32 v2, vcc, v2, v6, vcc
	v_add_co_u32_e32 v3, vcc, v3, v7
	v_addc_co_u32_e32 v4, vcc, v4, v8, vcc
	ds_write2_b64 v21, v[1:2], v[3:4] offset0:6 offset1:7
	v_add_u32_e32 v1, 0x50, v21
	ds_read2st64_b64 v[1:4], v1 offset1:22
	s_waitcnt lgkmcnt(2)
	v_add_co_u32_e32 v5, vcc, v13, v9
	v_addc_co_u32_e32 v6, vcc, v14, v10, vcc
	v_add_co_u32_e32 v7, vcc, v15, v11
	v_addc_co_u32_e32 v8, vcc, v16, v12, vcc
	s_waitcnt lgkmcnt(0)
	v_add_co_u32_e32 v1, vcc, v1, v3
	v_addc_co_u32_e32 v2, vcc, v2, v4, vcc
	ds_write2_b64 v21, v[5:6], v[7:8] offset0:8 offset1:9
	ds_write_b64 v21, v[1:2] offset:80
.LBB49_4:
	s_or_b64 exec, exec, s[2:3]
	v_cmp_gt_u32_e32 vcc, 64, v0
	s_waitcnt lgkmcnt(0)
	s_barrier
	s_and_saveexec_b64 s[2:3], vcc
	s_cbranch_execz .LBB49_6
; %bb.5:
	s_movk_i32 s4, 0x58
	v_mov_b32_e32 v1, 0x1600
	v_mad_u32_u24 v1, v0, s4, v1
	v_mul_u32_u24_e32 v21, 0x58, v0
	ds_read2_b64 v[1:4], v1 offset1:1
	ds_read2_b64 v[5:8], v21 offset1:1
	ds_read2_b64 v[9:12], v21 offset0:2 offset1:3
	ds_read2_b64 v[13:16], v21 offset0:8 offset1:9
	;; [unrolled: 1-line block ×3, first 2 shown]
	s_waitcnt lgkmcnt(3)
	v_add_co_u32_e32 v1, vcc, v5, v1
	v_addc_co_u32_e32 v2, vcc, v6, v2, vcc
	v_add_co_u32_e32 v3, vcc, v7, v3
	v_addc_co_u32_e32 v4, vcc, v8, v4, vcc
	ds_write2_b64 v21, v[1:2], v[3:4] offset1:1
	v_mov_b32_e32 v1, 0x1610
	v_mad_u32_u24 v1, v0, s4, v1
	ds_read2_b64 v[1:4], v1 offset1:1
	v_mov_b32_e32 v5, 0x1620
	v_mad_u32_u24 v5, v0, s4, v5
	ds_read2_b64 v[5:8], v5 offset1:1
	s_waitcnt lgkmcnt(1)
	v_add_co_u32_e32 v1, vcc, v9, v1
	v_addc_co_u32_e32 v2, vcc, v10, v2, vcc
	v_add_co_u32_e32 v3, vcc, v11, v3
	v_addc_co_u32_e32 v4, vcc, v12, v4, vcc
	ds_write2_b64 v21, v[1:2], v[3:4] offset0:2 offset1:3
	ds_read2_b64 v[1:4], v21 offset0:6 offset1:7
	s_waitcnt lgkmcnt(2)
	v_add_co_u32_e32 v5, vcc, v17, v5
	v_addc_co_u32_e32 v6, vcc, v18, v6, vcc
	v_add_co_u32_e32 v7, vcc, v19, v7
	v_addc_co_u32_e32 v8, vcc, v20, v8, vcc
	ds_write2_b64 v21, v[5:6], v[7:8] offset0:4 offset1:5
	v_mov_b32_e32 v5, 0x1630
	v_mad_u32_u24 v5, v0, s4, v5
	ds_read2_b64 v[5:8], v5 offset1:1
	v_mov_b32_e32 v9, 0x1640
	v_mad_u32_u24 v9, v0, s4, v9
	ds_read2_b64 v[9:12], v9 offset1:1
	s_waitcnt lgkmcnt(1)
	v_add_co_u32_e32 v1, vcc, v1, v5
	v_addc_co_u32_e32 v2, vcc, v2, v6, vcc
	v_add_co_u32_e32 v3, vcc, v3, v7
	v_addc_co_u32_e32 v4, vcc, v4, v8, vcc
	ds_write2_b64 v21, v[1:2], v[3:4] offset0:6 offset1:7
	v_add_u32_e32 v1, 0x50, v21
	ds_read2st64_b64 v[1:4], v1 offset1:11
	s_waitcnt lgkmcnt(2)
	v_add_co_u32_e32 v5, vcc, v13, v9
	v_addc_co_u32_e32 v6, vcc, v14, v10, vcc
	v_add_co_u32_e32 v7, vcc, v15, v11
	v_addc_co_u32_e32 v8, vcc, v16, v12, vcc
	s_waitcnt lgkmcnt(0)
	v_add_co_u32_e32 v1, vcc, v1, v3
	v_addc_co_u32_e32 v2, vcc, v2, v4, vcc
	ds_write2_b64 v21, v[5:6], v[7:8] offset0:8 offset1:9
	ds_write_b64 v21, v[1:2] offset:80
.LBB49_6:
	s_or_b64 exec, exec, s[2:3]
	v_cmp_gt_u32_e32 vcc, 32, v0
	s_waitcnt lgkmcnt(0)
	s_barrier
	s_and_saveexec_b64 s[2:3], vcc
	s_cbranch_execz .LBB49_8
; %bb.7:
	s_movk_i32 s4, 0x58
	v_mov_b32_e32 v1, 0xb00
	v_mad_u32_u24 v1, v0, s4, v1
	v_mul_u32_u24_e32 v19, 0x58, v0
	ds_read2_b64 v[1:4], v1 offset1:1
	ds_read2_b64 v[5:8], v19 offset1:1
	ds_read2_b64 v[9:12], v19 offset0:2 offset1:3
	ds_read_b64 v[17:18], v19 offset:2896
	ds_read2_b64 v[13:16], v19 offset0:4 offset1:5
	s_waitcnt lgkmcnt(3)
	v_add_co_u32_e32 v1, vcc, v5, v1
	v_addc_co_u32_e32 v2, vcc, v6, v2, vcc
	v_add_co_u32_e32 v3, vcc, v7, v3
	v_addc_co_u32_e32 v4, vcc, v8, v4, vcc
	ds_write2_b64 v19, v[1:2], v[3:4] offset1:1
	v_mov_b32_e32 v1, 0xb10
	v_mad_u32_u24 v1, v0, s4, v1
	ds_read2_b64 v[1:4], v1 offset1:1
	v_mov_b32_e32 v5, 0xb20
	v_mad_u32_u24 v5, v0, s4, v5
	ds_read2_b64 v[5:8], v5 offset1:1
	s_waitcnt lgkmcnt(1)
	v_add_co_u32_e32 v1, vcc, v9, v1
	v_addc_co_u32_e32 v2, vcc, v10, v2, vcc
	v_add_co_u32_e32 v3, vcc, v11, v3
	v_addc_co_u32_e32 v4, vcc, v12, v4, vcc
	ds_write2_b64 v19, v[1:2], v[3:4] offset0:2 offset1:3
	ds_read2_b64 v[1:4], v19 offset0:6 offset1:7
	s_waitcnt lgkmcnt(2)
	v_add_co_u32_e32 v5, vcc, v13, v5
	v_addc_co_u32_e32 v6, vcc, v14, v6, vcc
	v_add_co_u32_e32 v7, vcc, v15, v7
	v_addc_co_u32_e32 v8, vcc, v16, v8, vcc
	ds_write2_b64 v19, v[5:6], v[7:8] offset0:4 offset1:5
	v_mov_b32_e32 v5, 0xb30
	v_mad_u32_u24 v5, v0, s4, v5
	ds_read2_b64 v[5:8], v5 offset1:1
	v_mov_b32_e32 v9, 0xb40
	v_mad_u32_u24 v9, v0, s4, v9
	ds_read2_b64 v[9:12], v9 offset1:1
	ds_read2_b64 v[13:16], v19 offset0:8 offset1:9
	s_waitcnt lgkmcnt(2)
	v_add_co_u32_e32 v1, vcc, v1, v5
	v_addc_co_u32_e32 v2, vcc, v2, v6, vcc
	v_add_co_u32_e32 v3, vcc, v3, v7
	v_addc_co_u32_e32 v4, vcc, v4, v8, vcc
	ds_write2_b64 v19, v[1:2], v[3:4] offset0:6 offset1:7
	ds_read_b64 v[1:2], v19 offset:80
	s_waitcnt lgkmcnt(2)
	v_add_co_u32_e32 v3, vcc, v13, v9
	v_addc_co_u32_e32 v4, vcc, v14, v10, vcc
	v_add_co_u32_e32 v5, vcc, v15, v11
	v_addc_co_u32_e32 v6, vcc, v16, v12, vcc
	s_waitcnt lgkmcnt(0)
	v_add_co_u32_e32 v1, vcc, v1, v17
	v_addc_co_u32_e32 v2, vcc, v2, v18, vcc
	ds_write2_b64 v19, v[3:4], v[5:6] offset0:8 offset1:9
	ds_write_b64 v19, v[1:2] offset:80
.LBB49_8:
	s_or_b64 exec, exec, s[2:3]
	v_cmp_gt_u32_e32 vcc, 16, v0
	s_waitcnt lgkmcnt(0)
	s_barrier
	s_and_saveexec_b64 s[2:3], vcc
	s_cbranch_execz .LBB49_10
; %bb.9:
	v_mul_u32_u24_e32 v21, 0x58, v0
	ds_read2_b64 v[1:4], v21 offset0:176 offset1:177
	ds_read2_b64 v[5:8], v21 offset1:1
	ds_read2_b64 v[9:12], v21 offset0:2 offset1:3
	ds_read2_b64 v[13:16], v21 offset0:8 offset1:9
	ds_read2_b64 v[17:20], v21 offset0:178 offset1:179
	s_waitcnt lgkmcnt(3)
	v_add_co_u32_e32 v1, vcc, v5, v1
	v_addc_co_u32_e32 v2, vcc, v6, v2, vcc
	v_add_co_u32_e32 v3, vcc, v7, v3
	v_addc_co_u32_e32 v4, vcc, v8, v4, vcc
	ds_write2_b64 v21, v[1:2], v[3:4] offset1:1
	ds_read2_b64 v[1:4], v21 offset0:180 offset1:181
	s_waitcnt lgkmcnt(2)
	v_add_co_u32_e32 v9, vcc, v9, v17
	ds_read2_b64 v[5:8], v21 offset0:4 offset1:5
	v_addc_co_u32_e32 v10, vcc, v10, v18, vcc
	v_add_co_u32_e32 v11, vcc, v11, v19
	v_addc_co_u32_e32 v12, vcc, v12, v20, vcc
	ds_write2_b64 v21, v[9:10], v[11:12] offset0:2 offset1:3
	ds_read2_b64 v[9:12], v21 offset0:6 offset1:7
	ds_read2_b64 v[17:20], v21 offset0:182 offset1:183
	s_waitcnt lgkmcnt(3)
	v_add_co_u32_e32 v1, vcc, v5, v1
	v_addc_co_u32_e32 v2, vcc, v6, v2, vcc
	v_add_co_u32_e32 v3, vcc, v7, v3
	v_addc_co_u32_e32 v4, vcc, v8, v4, vcc
	ds_write2_b64 v21, v[1:2], v[3:4] offset0:4 offset1:5
	ds_read2_b64 v[1:4], v21 offset0:184 offset1:185
	s_waitcnt lgkmcnt(2)
	v_add_co_u32_e32 v5, vcc, v9, v17
	v_addc_co_u32_e32 v6, vcc, v10, v18, vcc
	v_add_co_u32_e32 v7, vcc, v11, v19
	v_addc_co_u32_e32 v8, vcc, v12, v20, vcc
	ds_write2_b64 v21, v[5:6], v[7:8] offset0:6 offset1:7
	ds_read2_b64 v[5:8], v21 offset0:10 offset1:186
	s_waitcnt lgkmcnt(2)
	v_add_co_u32_e32 v1, vcc, v13, v1
	v_addc_co_u32_e32 v2, vcc, v14, v2, vcc
	v_add_co_u32_e32 v3, vcc, v15, v3
	v_addc_co_u32_e32 v4, vcc, v16, v4, vcc
	ds_write2_b64 v21, v[1:2], v[3:4] offset0:8 offset1:9
	s_waitcnt lgkmcnt(1)
	v_add_co_u32_e32 v1, vcc, v5, v7
	v_addc_co_u32_e32 v2, vcc, v6, v8, vcc
	ds_write_b64 v21, v[1:2] offset:80
.LBB49_10:
	s_or_b64 exec, exec, s[2:3]
	v_cmp_gt_u32_e32 vcc, 8, v0
	s_waitcnt lgkmcnt(0)
	s_barrier
	s_and_saveexec_b64 s[2:3], vcc
	s_cbranch_execz .LBB49_12
; %bb.11:
	v_mul_u32_u24_e32 v21, 0x58, v0
	ds_read2_b64 v[1:4], v21 offset0:88 offset1:89
	ds_read2_b64 v[5:8], v21 offset1:1
	ds_read2_b64 v[9:12], v21 offset0:2 offset1:3
	ds_read2_b64 v[13:16], v21 offset0:8 offset1:9
	ds_read2_b64 v[17:20], v21 offset0:90 offset1:91
	s_waitcnt lgkmcnt(3)
	v_add_co_u32_e32 v1, vcc, v5, v1
	v_addc_co_u32_e32 v2, vcc, v6, v2, vcc
	v_add_co_u32_e32 v3, vcc, v7, v3
	v_addc_co_u32_e32 v4, vcc, v8, v4, vcc
	ds_write2_b64 v21, v[1:2], v[3:4] offset1:1
	ds_read2_b64 v[1:4], v21 offset0:92 offset1:93
	s_waitcnt lgkmcnt(2)
	v_add_co_u32_e32 v9, vcc, v9, v17
	ds_read2_b64 v[5:8], v21 offset0:4 offset1:5
	v_addc_co_u32_e32 v10, vcc, v10, v18, vcc
	v_add_co_u32_e32 v11, vcc, v11, v19
	v_addc_co_u32_e32 v12, vcc, v12, v20, vcc
	ds_write2_b64 v21, v[9:10], v[11:12] offset0:2 offset1:3
	ds_read2_b64 v[9:12], v21 offset0:6 offset1:7
	ds_read2_b64 v[17:20], v21 offset0:94 offset1:95
	s_waitcnt lgkmcnt(3)
	v_add_co_u32_e32 v1, vcc, v5, v1
	v_addc_co_u32_e32 v2, vcc, v6, v2, vcc
	v_add_co_u32_e32 v3, vcc, v7, v3
	v_addc_co_u32_e32 v4, vcc, v8, v4, vcc
	ds_write2_b64 v21, v[1:2], v[3:4] offset0:4 offset1:5
	ds_read2_b64 v[1:4], v21 offset0:96 offset1:97
	s_waitcnt lgkmcnt(2)
	v_add_co_u32_e32 v5, vcc, v9, v17
	v_addc_co_u32_e32 v6, vcc, v10, v18, vcc
	v_add_co_u32_e32 v7, vcc, v11, v19
	v_addc_co_u32_e32 v8, vcc, v12, v20, vcc
	ds_write2_b64 v21, v[5:6], v[7:8] offset0:6 offset1:7
	ds_read2_b64 v[5:8], v21 offset0:10 offset1:98
	s_waitcnt lgkmcnt(2)
	v_add_co_u32_e32 v1, vcc, v13, v1
	v_addc_co_u32_e32 v2, vcc, v14, v2, vcc
	v_add_co_u32_e32 v3, vcc, v15, v3
	v_addc_co_u32_e32 v4, vcc, v16, v4, vcc
	ds_write2_b64 v21, v[1:2], v[3:4] offset0:8 offset1:9
	s_waitcnt lgkmcnt(1)
	v_add_co_u32_e32 v1, vcc, v5, v7
	v_addc_co_u32_e32 v2, vcc, v6, v8, vcc
	ds_write_b64 v21, v[1:2] offset:80
.LBB49_12:
	;; [unrolled: 54-line block ×4, first 2 shown]
	s_or_b64 exec, exec, s[2:3]
	v_cmp_eq_u32_e32 vcc, 0, v0
	s_waitcnt lgkmcnt(0)
	s_barrier
	s_and_saveexec_b64 s[2:3], vcc
	s_cbranch_execz .LBB49_18
; %bb.17:
	v_mov_b32_e32 v33, 0
	ds_read_b128 v[1:4], v33 offset:80
	ds_read_b128 v[5:8], v33
	ds_read_b128 v[9:12], v33 offset:16
	ds_read_b128 v[13:16], v33 offset:32
	;; [unrolled: 1-line block ×5, first 2 shown]
	s_waitcnt lgkmcnt(5)
	v_add_co_u32_e32 v3, vcc, v5, v3
	v_addc_co_u32_e32 v4, vcc, v6, v4, vcc
	ds_read_b128 v[29:32], v33 offset:112
	s_waitcnt lgkmcnt(2)
	v_add_co_u32_e32 v5, vcc, v7, v21
	v_addc_co_u32_e32 v6, vcc, v8, v22, vcc
	ds_write_b128 v33, v[3:6]
	v_add_co_u32_e32 v3, vcc, v9, v23
	v_addc_co_u32_e32 v4, vcc, v10, v24, vcc
	s_waitcnt lgkmcnt(1)
	v_add_co_u32_e32 v5, vcc, v11, v29
	v_addc_co_u32_e32 v6, vcc, v12, v30, vcc
	ds_write_b128 v33, v[3:6] offset:16
	ds_read_b128 v[3:6], v33 offset:128
	v_add_co_u32_e32 v7, vcc, v13, v31
	v_addc_co_u32_e32 v8, vcc, v14, v32, vcc
	ds_read_b128 v[11:14], v33 offset:144
	s_waitcnt lgkmcnt(1)
	v_add_co_u32_e32 v9, vcc, v15, v3
	v_addc_co_u32_e32 v10, vcc, v16, v4, vcc
	v_add_co_u32_e32 v3, vcc, v17, v5
	v_addc_co_u32_e32 v4, vcc, v18, v6, vcc
	s_waitcnt lgkmcnt(0)
	v_add_co_u32_e32 v5, vcc, v19, v11
	v_addc_co_u32_e32 v6, vcc, v20, v12, vcc
	ds_write_b128 v33, v[3:6] offset:48
	ds_read_b128 v[3:6], v33 offset:160
	ds_write_b128 v33, v[7:10] offset:32
	v_add_co_u32_e32 v7, vcc, v25, v13
	v_addc_co_u32_e32 v8, vcc, v26, v14, vcc
	s_waitcnt lgkmcnt(1)
	v_add_co_u32_e32 v9, vcc, v27, v3
	v_addc_co_u32_e32 v10, vcc, v28, v4, vcc
	v_add_co_u32_e32 v1, vcc, v1, v5
	v_addc_co_u32_e32 v2, vcc, v2, v6, vcc
	ds_write_b128 v33, v[7:10] offset:64
	ds_write_b64 v33, v[1:2] offset:80
.LBB49_18:
	s_or_b64 exec, exec, s[2:3]
	v_cmp_gt_u32_e32 vcc, 11, v0
	s_waitcnt lgkmcnt(0)
	s_barrier
	s_and_saveexec_b64 s[2:3], vcc
	s_cbranch_execz .LBB49_20
; %bb.19:
	v_lshlrev_b32_e32 v2, 3, v0
	ds_read_b64 v[0:1], v2
	s_waitcnt lgkmcnt(0)
	global_store_dwordx2 v2, v[0:1], s[0:1]
.LBB49_20:
	s_endpgm
	.section	.rodata,"a",@progbits
	.p2align	6, 0x0
	.amdhsa_kernel _ZN9rocsparseL35csrgemm_symbolic_group_reduce_part3ILj256ELj11ElEEvPT1_
		.amdhsa_group_segment_fixed_size 22528
		.amdhsa_private_segment_fixed_size 0
		.amdhsa_kernarg_size 8
		.amdhsa_user_sgpr_count 6
		.amdhsa_user_sgpr_private_segment_buffer 1
		.amdhsa_user_sgpr_dispatch_ptr 0
		.amdhsa_user_sgpr_queue_ptr 0
		.amdhsa_user_sgpr_kernarg_segment_ptr 1
		.amdhsa_user_sgpr_dispatch_id 0
		.amdhsa_user_sgpr_flat_scratch_init 0
		.amdhsa_user_sgpr_private_segment_size 0
		.amdhsa_uses_dynamic_stack 0
		.amdhsa_system_sgpr_private_segment_wavefront_offset 0
		.amdhsa_system_sgpr_workgroup_id_x 1
		.amdhsa_system_sgpr_workgroup_id_y 0
		.amdhsa_system_sgpr_workgroup_id_z 0
		.amdhsa_system_sgpr_workgroup_info 0
		.amdhsa_system_vgpr_workitem_id 0
		.amdhsa_next_free_vgpr 85
		.amdhsa_next_free_sgpr 98
		.amdhsa_reserve_vcc 1
		.amdhsa_reserve_flat_scratch 0
		.amdhsa_float_round_mode_32 0
		.amdhsa_float_round_mode_16_64 0
		.amdhsa_float_denorm_mode_32 3
		.amdhsa_float_denorm_mode_16_64 3
		.amdhsa_dx10_clamp 1
		.amdhsa_ieee_mode 1
		.amdhsa_fp16_overflow 0
		.amdhsa_exception_fp_ieee_invalid_op 0
		.amdhsa_exception_fp_denorm_src 0
		.amdhsa_exception_fp_ieee_div_zero 0
		.amdhsa_exception_fp_ieee_overflow 0
		.amdhsa_exception_fp_ieee_underflow 0
		.amdhsa_exception_fp_ieee_inexact 0
		.amdhsa_exception_int_div_zero 0
	.end_amdhsa_kernel
	.section	.text._ZN9rocsparseL35csrgemm_symbolic_group_reduce_part3ILj256ELj11ElEEvPT1_,"axG",@progbits,_ZN9rocsparseL35csrgemm_symbolic_group_reduce_part3ILj256ELj11ElEEvPT1_,comdat
.Lfunc_end49:
	.size	_ZN9rocsparseL35csrgemm_symbolic_group_reduce_part3ILj256ELj11ElEEvPT1_, .Lfunc_end49-_ZN9rocsparseL35csrgemm_symbolic_group_reduce_part3ILj256ELj11ElEEvPT1_
                                        ; -- End function
	.set _ZN9rocsparseL35csrgemm_symbolic_group_reduce_part3ILj256ELj11ElEEvPT1_.num_vgpr, 34
	.set _ZN9rocsparseL35csrgemm_symbolic_group_reduce_part3ILj256ELj11ElEEvPT1_.num_agpr, 0
	.set _ZN9rocsparseL35csrgemm_symbolic_group_reduce_part3ILj256ELj11ElEEvPT1_.numbered_sgpr, 6
	.set _ZN9rocsparseL35csrgemm_symbolic_group_reduce_part3ILj256ELj11ElEEvPT1_.num_named_barrier, 0
	.set _ZN9rocsparseL35csrgemm_symbolic_group_reduce_part3ILj256ELj11ElEEvPT1_.private_seg_size, 0
	.set _ZN9rocsparseL35csrgemm_symbolic_group_reduce_part3ILj256ELj11ElEEvPT1_.uses_vcc, 1
	.set _ZN9rocsparseL35csrgemm_symbolic_group_reduce_part3ILj256ELj11ElEEvPT1_.uses_flat_scratch, 0
	.set _ZN9rocsparseL35csrgemm_symbolic_group_reduce_part3ILj256ELj11ElEEvPT1_.has_dyn_sized_stack, 0
	.set _ZN9rocsparseL35csrgemm_symbolic_group_reduce_part3ILj256ELj11ElEEvPT1_.has_recursion, 0
	.set _ZN9rocsparseL35csrgemm_symbolic_group_reduce_part3ILj256ELj11ElEEvPT1_.has_indirect_call, 0
	.section	.AMDGPU.csdata,"",@progbits
; Kernel info:
; codeLenInByte = 2684
; TotalNumSgprs: 10
; NumVgprs: 34
; ScratchSize: 0
; MemoryBound: 1
; FloatMode: 240
; IeeeMode: 1
; LDSByteSize: 22528 bytes/workgroup (compile time only)
; SGPRBlocks: 12
; VGPRBlocks: 21
; NumSGPRsForWavesPerEU: 102
; NumVGPRsForWavesPerEU: 85
; Occupancy: 2
; WaveLimiterHint : 1
; COMPUTE_PGM_RSRC2:SCRATCH_EN: 0
; COMPUTE_PGM_RSRC2:USER_SGPR: 6
; COMPUTE_PGM_RSRC2:TRAP_HANDLER: 0
; COMPUTE_PGM_RSRC2:TGID_X_EN: 1
; COMPUTE_PGM_RSRC2:TGID_Y_EN: 0
; COMPUTE_PGM_RSRC2:TGID_Z_EN: 0
; COMPUTE_PGM_RSRC2:TIDIG_COMP_CNT: 0
	.section	.text._ZN9rocsparseL32csrgemm_symbolic_fill_wf_per_rowILj256ELj8ELj16ELj137EllEEvT4_S1_PKS1_S3_PKT3_S3_S6_S3_S6_S3_S6_PS1_21rocsparse_index_base_S8_S8_S8_bb,"axG",@progbits,_ZN9rocsparseL32csrgemm_symbolic_fill_wf_per_rowILj256ELj8ELj16ELj137EllEEvT4_S1_PKS1_S3_PKT3_S3_S6_S3_S6_S3_S6_PS1_21rocsparse_index_base_S8_S8_S8_bb,comdat
	.globl	_ZN9rocsparseL32csrgemm_symbolic_fill_wf_per_rowILj256ELj8ELj16ELj137EllEEvT4_S1_PKS1_S3_PKT3_S3_S6_S3_S6_S3_S6_PS1_21rocsparse_index_base_S8_S8_S8_bb ; -- Begin function _ZN9rocsparseL32csrgemm_symbolic_fill_wf_per_rowILj256ELj8ELj16ELj137EllEEvT4_S1_PKS1_S3_PKT3_S3_S6_S3_S6_S3_S6_PS1_21rocsparse_index_base_S8_S8_S8_bb
	.p2align	8
	.type	_ZN9rocsparseL32csrgemm_symbolic_fill_wf_per_rowILj256ELj8ELj16ELj137EllEEvT4_S1_PKS1_S3_PKT3_S3_S6_S3_S6_S3_S6_PS1_21rocsparse_index_base_S8_S8_S8_bb,@function
_ZN9rocsparseL32csrgemm_symbolic_fill_wf_per_rowILj256ELj8ELj16ELj137EllEEvT4_S1_PKS1_S3_PKT3_S3_S6_S3_S6_S3_S6_PS1_21rocsparse_index_base_S8_S8_S8_bb: ; @_ZN9rocsparseL32csrgemm_symbolic_fill_wf_per_rowILj256ELj8ELj16ELj137EllEEvT4_S1_PKS1_S3_PKT3_S3_S6_S3_S6_S3_S6_PS1_21rocsparse_index_base_S8_S8_S8_bb
; %bb.0:
	s_load_dwordx8 s[8:15], s[4:5], 0x40
	s_load_dwordx8 s[20:27], s[4:5], 0x0
	;; [unrolled: 1-line block ×3, first 2 shown]
	v_lshrrev_b32_e32 v2, 3, v0
	v_and_b32_e32 v17, 7, v0
	v_lshlrev_b32_e32 v14, 7, v2
	v_or_b32_e32 v15, -8, v17
	v_lshl_or_b32 v16, v17, 3, v14
	s_waitcnt lgkmcnt(0)
	v_mov_b32_e32 v0, s22
	s_mov_b64 s[0:1], 0
	v_mov_b32_e32 v1, s23
	v_mov_b32_e32 v3, v16
	;; [unrolled: 1-line block ×3, first 2 shown]
.LBB50_1:                               ; =>This Inner Loop Header: Depth=1
	v_add_co_u32_e32 v4, vcc, 8, v4
	s_xor_b64 s[2:3], vcc, -1
	s_and_b64 s[2:3], exec, s[2:3]
	ds_write_b64 v3, v[0:1]
	s_or_b64 s[0:1], s[2:3], s[0:1]
	v_add_u32_e32 v3, 64, v3
	s_andn2_b64 exec, exec, s[0:1]
	s_cbranch_execnz .LBB50_1
; %bb.2:
	s_or_b64 exec, exec, s[0:1]
	s_lshl_b32 s0, s6, 5
	s_and_b32 s0, s0, 0x1fffffe0
	v_or_b32_e32 v0, s0, v2
	v_mov_b32_e32 v1, 0
	v_cmp_gt_i64_e32 vcc, s[20:21], v[0:1]
	s_waitcnt lgkmcnt(0)
	s_and_saveexec_b64 s[0:1], vcc
	s_cbranch_execz .LBB50_38
; %bb.3:
	s_cmp_eq_u64 s[26:27], 0
	s_cbranch_scc1 .LBB50_5
; %bb.4:
	s_load_dwordx2 s[0:1], s[24:25], 0x0
	v_lshlrev_b32_e32 v0, 3, v0
	s_waitcnt lgkmcnt(0)
	s_lshl_b64 s[0:1], s[0:1], 3
	s_add_u32 s0, s26, s0
	s_addc_u32 s1, s27, s1
	global_load_dwordx2 v[0:1], v0, s[0:1]
.LBB50_5:
	s_load_dword s33, s[4:5], 0x70
	s_load_dwordx4 s[24:27], s[4:5], 0x60
	s_waitcnt vmcnt(0)
	v_lshlrev_b64 v[4:5], 3, v[0:1]
	s_waitcnt lgkmcnt(0)
	s_bitcmp0_b32 s33, 0
	s_cbranch_scc1 .LBB50_21
; %bb.6:
	v_mov_b32_e32 v1, s37
	v_add_co_u32_e32 v0, vcc, s36, v4
	v_addc_co_u32_e32 v1, vcc, v1, v5, vcc
	global_load_dwordx4 v[0:3], v[0:1], off
	v_subrev_co_u32_e32 v8, vcc, s24, v17
	v_subb_co_u32_e64 v9, s[0:1], 0, 0, vcc
	s_waitcnt vmcnt(0)
	v_subrev_co_u32_e32 v6, vcc, s24, v2
	v_subbrev_co_u32_e32 v7, vcc, 0, v3, vcc
	v_add_co_u32_e32 v8, vcc, v0, v8
	v_addc_co_u32_e32 v9, vcc, v1, v9, vcc
	v_cmp_lt_i64_e32 vcc, v[8:9], v[6:7]
	s_and_saveexec_b64 s[0:1], vcc
	s_cbranch_execz .LBB50_20
; %bb.7:
	s_mov_b64 s[2:3], 0
	v_mov_b32_e32 v18, s39
	v_mov_b32_e32 v19, s41
	s_branch .LBB50_9
.LBB50_8:                               ;   in Loop: Header=BB50_9 Depth=1
	s_or_b64 exec, exec, s[4:5]
	v_add_co_u32_e32 v8, vcc, 8, v8
	v_addc_co_u32_e32 v9, vcc, 0, v9, vcc
	v_cmp_ge_i64_e32 vcc, v[8:9], v[6:7]
	s_or_b64 s[2:3], vcc, s[2:3]
	s_andn2_b64 exec, exec, s[2:3]
	s_cbranch_execz .LBB50_20
.LBB50_9:                               ; =>This Loop Header: Depth=1
                                        ;     Child Loop BB50_12 Depth 2
                                        ;       Child Loop BB50_15 Depth 3
	v_lshlrev_b64 v[0:1], 3, v[8:9]
	v_add_co_u32_e32 v0, vcc, s38, v0
	v_addc_co_u32_e32 v1, vcc, v18, v1, vcc
	global_load_dwordx2 v[0:1], v[0:1], off
	s_waitcnt vmcnt(0)
	v_subrev_co_u32_e32 v0, vcc, s24, v0
	v_subbrev_co_u32_e32 v1, vcc, 0, v1, vcc
	v_lshlrev_b64 v[0:1], 3, v[0:1]
	v_add_co_u32_e32 v0, vcc, s40, v0
	v_addc_co_u32_e32 v1, vcc, v19, v1, vcc
	global_load_dwordx4 v[0:3], v[0:1], off
	s_waitcnt vmcnt(0)
	v_cmp_lt_i64_e32 vcc, v[0:1], v[2:3]
	s_and_saveexec_b64 s[4:5], vcc
	s_cbranch_execz .LBB50_8
; %bb.10:                               ;   in Loop: Header=BB50_9 Depth=1
	v_subrev_co_u32_e32 v2, vcc, s25, v2
	v_subbrev_co_u32_e32 v3, vcc, 0, v3, vcc
	v_subrev_co_u32_e32 v0, vcc, s25, v0
	v_subbrev_co_u32_e32 v1, vcc, 0, v1, vcc
	s_mov_b64 s[6:7], 0
	s_branch .LBB50_12
.LBB50_11:                              ;   in Loop: Header=BB50_12 Depth=2
	s_or_b64 exec, exec, s[18:19]
	v_add_co_u32_e32 v0, vcc, 1, v0
	v_addc_co_u32_e32 v1, vcc, 0, v1, vcc
	v_cmp_ge_i64_e32 vcc, v[0:1], v[2:3]
	s_or_b64 s[6:7], vcc, s[6:7]
	s_andn2_b64 exec, exec, s[6:7]
	s_cbranch_execz .LBB50_8
.LBB50_12:                              ;   Parent Loop BB50_9 Depth=1
                                        ; =>  This Loop Header: Depth=2
                                        ;       Child Loop BB50_15 Depth 3
	v_lshlrev_b64 v[10:11], 3, v[0:1]
	v_mov_b32_e32 v12, s43
	v_add_co_u32_e32 v10, vcc, s42, v10
	v_addc_co_u32_e32 v11, vcc, v12, v11, vcc
	global_load_dwordx2 v[10:11], v[10:11], off
	s_mov_b64 s[18:19], 0
                                        ; implicit-def: $sgpr16_sgpr17
	s_waitcnt vmcnt(0)
	v_subrev_co_u32_e32 v10, vcc, s25, v10
	v_lshl_add_u32 v12, v10, 3, v10
	v_subbrev_co_u32_e32 v11, vcc, 0, v11, vcc
	v_and_b32_e32 v20, 15, v12
	s_branch .LBB50_15
.LBB50_13:                              ;   in Loop: Header=BB50_15 Depth=3
	s_or_b64 exec, exec, s[28:29]
	s_andn2_b64 s[16:17], s[16:17], exec
	s_and_b64 s[28:29], s[30:31], exec
	s_or_b64 s[16:17], s[16:17], s[28:29]
.LBB50_14:                              ;   in Loop: Header=BB50_15 Depth=3
	s_or_b64 exec, exec, s[20:21]
	s_xor_b64 s[20:21], s[16:17], -1
	s_and_b64 s[20:21], exec, s[20:21]
	s_or_b64 s[18:19], s[20:21], s[18:19]
	s_andn2_b64 exec, exec, s[18:19]
	s_cbranch_execz .LBB50_11
.LBB50_15:                              ;   Parent Loop BB50_9 Depth=1
                                        ;     Parent Loop BB50_12 Depth=2
                                        ; =>    This Inner Loop Header: Depth=3
	v_lshl_add_u32 v21, v20, 3, v14
	ds_read_b64 v[12:13], v21
	s_andn2_b64 s[16:17], s[16:17], exec
	s_waitcnt lgkmcnt(0)
	v_cmp_ne_u64_e32 vcc, v[12:13], v[10:11]
	s_and_saveexec_b64 s[20:21], vcc
	s_cbranch_execz .LBB50_14
; %bb.16:                               ;   in Loop: Header=BB50_15 Depth=3
	v_cmp_ne_u64_e32 vcc, s[22:23], v[12:13]
	s_and_saveexec_b64 s[28:29], vcc
	s_xor_b64 s[28:29], exec, s[28:29]
; %bb.17:                               ;   in Loop: Header=BB50_15 Depth=3
	v_add_u32_e32 v12, 1, v20
	v_and_b32_e32 v20, 15, v12
                                        ; implicit-def: $vgpr21
; %bb.18:                               ;   in Loop: Header=BB50_15 Depth=3
	s_or_saveexec_b64 s[28:29], s[28:29]
	s_mov_b64 s[30:31], -1
	s_xor_b64 exec, exec, s[28:29]
	s_cbranch_execz .LBB50_13
; %bb.19:                               ;   in Loop: Header=BB50_15 Depth=3
	v_mov_b32_e32 v12, s22
	v_mov_b32_e32 v13, s23
	ds_cmpst_rtn_b64 v[12:13], v21, v[12:13], v[10:11]
	s_waitcnt lgkmcnt(0)
	v_cmp_ne_u64_e32 vcc, s[22:23], v[12:13]
	s_orn2_b64 s[30:31], vcc, exec
	s_branch .LBB50_13
.LBB50_20:
	s_or_b64 exec, exec, s[0:1]
.LBB50_21:
	s_bfe_u32 s0, s33, 0x10008
	s_cmp_eq_u32 s0, 0
	s_cbranch_scc1 .LBB50_34
; %bb.22:
	v_mov_b32_e32 v1, s9
	v_add_co_u32_e32 v0, vcc, s8, v4
	v_addc_co_u32_e32 v1, vcc, v1, v5, vcc
	global_load_dwordx4 v[6:9], v[0:1], off
	v_subrev_co_u32_e32 v2, vcc, s27, v17
	v_subb_co_u32_e64 v3, s[0:1], 0, 0, vcc
	s_waitcnt vmcnt(0)
	v_subrev_co_u32_e32 v0, vcc, s27, v8
	v_subbrev_co_u32_e32 v1, vcc, 0, v9, vcc
	v_add_co_u32_e32 v2, vcc, v6, v2
	v_addc_co_u32_e32 v3, vcc, v7, v3, vcc
	v_cmp_lt_i64_e32 vcc, v[2:3], v[0:1]
	s_and_saveexec_b64 s[0:1], vcc
	s_cbranch_execz .LBB50_33
; %bb.23:
	s_mov_b32 s20, s27
	s_mov_b64 s[2:3], 0
	v_mov_b32_e32 v10, s11
	s_branch .LBB50_25
.LBB50_24:                              ;   in Loop: Header=BB50_25 Depth=1
	s_or_b64 exec, exec, s[6:7]
	v_add_co_u32_e32 v2, vcc, 8, v2
	v_addc_co_u32_e32 v3, vcc, 0, v3, vcc
	v_cmp_ge_i64_e32 vcc, v[2:3], v[0:1]
	s_or_b64 s[2:3], vcc, s[2:3]
	s_andn2_b64 exec, exec, s[2:3]
	s_cbranch_execz .LBB50_33
.LBB50_25:                              ; =>This Loop Header: Depth=1
                                        ;     Child Loop BB50_28 Depth 2
	v_lshlrev_b64 v[6:7], 3, v[2:3]
	s_mov_b64 s[6:7], 0
	v_add_co_u32_e32 v6, vcc, s10, v6
	v_addc_co_u32_e32 v7, vcc, v10, v7, vcc
	global_load_dwordx2 v[6:7], v[6:7], off
                                        ; implicit-def: $sgpr4_sgpr5
	s_waitcnt vmcnt(0)
	v_subrev_co_u32_e32 v6, vcc, s20, v6
	v_lshl_add_u32 v8, v6, 3, v6
	v_subbrev_co_u32_e32 v7, vcc, 0, v7, vcc
	v_and_b32_e32 v11, 15, v8
	s_branch .LBB50_28
.LBB50_26:                              ;   in Loop: Header=BB50_28 Depth=2
	s_or_b64 exec, exec, s[16:17]
	s_andn2_b64 s[4:5], s[4:5], exec
	s_and_b64 s[16:17], s[18:19], exec
	s_or_b64 s[4:5], s[4:5], s[16:17]
.LBB50_27:                              ;   in Loop: Header=BB50_28 Depth=2
	s_or_b64 exec, exec, s[8:9]
	s_xor_b64 s[8:9], s[4:5], -1
	s_and_b64 s[8:9], exec, s[8:9]
	s_or_b64 s[6:7], s[8:9], s[6:7]
	s_andn2_b64 exec, exec, s[6:7]
	s_cbranch_execz .LBB50_24
.LBB50_28:                              ;   Parent Loop BB50_25 Depth=1
                                        ; =>  This Inner Loop Header: Depth=2
	v_lshl_add_u32 v12, v11, 3, v14
	ds_read_b64 v[8:9], v12
	s_andn2_b64 s[4:5], s[4:5], exec
	s_waitcnt lgkmcnt(0)
	v_cmp_ne_u64_e32 vcc, v[8:9], v[6:7]
	s_and_saveexec_b64 s[8:9], vcc
	s_cbranch_execz .LBB50_27
; %bb.29:                               ;   in Loop: Header=BB50_28 Depth=2
	v_cmp_ne_u64_e32 vcc, s[22:23], v[8:9]
	s_and_saveexec_b64 s[16:17], vcc
	s_xor_b64 s[16:17], exec, s[16:17]
; %bb.30:                               ;   in Loop: Header=BB50_28 Depth=2
	v_add_u32_e32 v8, 1, v11
	v_and_b32_e32 v11, 15, v8
                                        ; implicit-def: $vgpr12
; %bb.31:                               ;   in Loop: Header=BB50_28 Depth=2
	s_or_saveexec_b64 s[16:17], s[16:17]
	s_mov_b64 s[18:19], -1
	s_xor_b64 exec, exec, s[16:17]
	s_cbranch_execz .LBB50_26
; %bb.32:                               ;   in Loop: Header=BB50_28 Depth=2
	v_mov_b32_e32 v8, s22
	v_mov_b32_e32 v9, s23
	ds_cmpst_rtn_b64 v[8:9], v12, v[8:9], v[6:7]
	s_waitcnt lgkmcnt(0)
	v_cmp_ne_u64_e32 vcc, s[22:23], v[8:9]
	s_orn2_b64 s[18:19], vcc, exec
	s_branch .LBB50_26
.LBB50_33:
	s_or_b64 exec, exec, s[0:1]
.LBB50_34:
	v_mov_b32_e32 v1, s13
	v_add_co_u32_e32 v0, vcc, s12, v4
	v_addc_co_u32_e32 v1, vcc, v1, v5, vcc
	global_load_dwordx2 v[0:1], v[0:1], off
	v_mov_b32_e32 v3, s15
	s_mov_b64 s[24:25], 0
	s_waitcnt vmcnt(0)
	v_subrev_co_u32_e32 v0, vcc, s26, v0
	v_subbrev_co_u32_e32 v1, vcc, 0, v1, vcc
	v_lshlrev_b64 v[0:1], 3, v[0:1]
	v_add_co_u32_e32 v2, vcc, s14, v0
	v_addc_co_u32_e32 v3, vcc, v3, v1, vcc
	s_branch .LBB50_36
.LBB50_35:                              ;   in Loop: Header=BB50_36 Depth=1
	s_or_b64 exec, exec, s[28:29]
	v_add_co_u32_e32 v15, vcc, 8, v15
	s_xor_b64 s[0:1], vcc, -1
	s_and_b64 s[0:1], exec, s[0:1]
	s_or_b64 s[24:25], s[0:1], s[24:25]
	v_add_u32_e32 v16, 64, v16
	s_andn2_b64 exec, exec, s[24:25]
	s_cbranch_execz .LBB50_38
.LBB50_36:                              ; =>This Inner Loop Header: Depth=1
	ds_read_b64 v[0:1], v16
	s_waitcnt lgkmcnt(0)
	v_cmp_gt_i64_e32 vcc, s[22:23], v[0:1]
	s_and_saveexec_b64 s[28:29], vcc
	s_cbranch_execz .LBB50_35
; %bb.37:                               ;   in Loop: Header=BB50_36 Depth=1
	ds_read_b128 v[4:7], v14 offset:16
	ds_read_b128 v[8:11], v14 offset:32
	;; [unrolled: 1-line block ×3, first 2 shown]
	s_waitcnt lgkmcnt(2)
	v_cmp_gt_i64_e32 vcc, v[0:1], v[4:5]
	v_cmp_gt_i64_e64 s[0:1], v[0:1], v[6:7]
	s_waitcnt lgkmcnt(0)
	v_cmp_gt_i64_e64 s[6:7], v[0:1], v[17:18]
	v_cmp_gt_i64_e64 s[8:9], v[0:1], v[19:20]
	ds_read_b128 v[17:20], v14 offset:80
	ds_read_b128 v[4:7], v14
	v_cmp_gt_i64_e64 s[2:3], v[0:1], v[8:9]
	v_cmp_gt_i64_e64 s[4:5], v[0:1], v[10:11]
	ds_read_b128 v[8:11], v14 offset:64
	s_waitcnt lgkmcnt(2)
	v_cmp_gt_i64_e64 s[16:17], v[0:1], v[17:18]
	v_add_co_u32_e64 v17, s[20:21], s26, v0
	v_addc_co_u32_e64 v18, s[20:21], 0, v1, s[20:21]
	s_waitcnt lgkmcnt(1)
	v_cmp_gt_i64_e64 s[20:21], v[0:1], v[4:5]
	v_cmp_gt_i64_e64 s[10:11], v[0:1], v[6:7]
	v_cndmask_b32_e64 v4, 0, 1, s[20:21]
	v_cmp_gt_i64_e64 s[18:19], v[0:1], v[19:20]
	v_lshlrev_b32_e32 v4, 3, v4
	v_cndmask_b32_e64 v19, 0, 1, s[10:11]
	v_add_co_u32_e64 v4, s[20:21], v2, v4
	v_lshlrev_b32_e32 v19, 3, v19
	v_add_co_u32_e64 v4, s[10:11], v4, v19
	v_cndmask_b32_e64 v19, 0, 1, vcc
	v_addc_co_u32_e64 v5, s[20:21], 0, v3, s[20:21]
	v_lshlrev_b32_e32 v19, 3, v19
	v_addc_co_u32_e64 v5, s[10:11], 0, v5, s[10:11]
	v_add_co_u32_e32 v4, vcc, v4, v19
	v_cndmask_b32_e64 v19, 0, 1, s[0:1]
	v_addc_co_u32_e32 v5, vcc, 0, v5, vcc
	v_lshlrev_b32_e32 v19, 3, v19
	v_add_co_u32_e32 v4, vcc, v4, v19
	v_cndmask_b32_e64 v19, 0, 1, s[2:3]
	v_addc_co_u32_e32 v5, vcc, 0, v5, vcc
	v_lshlrev_b32_e32 v19, 3, v19
	;; [unrolled: 4-line block ×4, first 2 shown]
	s_waitcnt lgkmcnt(0)
	v_cmp_gt_i64_e64 s[12:13], v[0:1], v[8:9]
	v_add_co_u32_e32 v4, vcc, v4, v19
	v_cndmask_b32_e64 v19, 0, 1, s[8:9]
	v_addc_co_u32_e32 v5, vcc, 0, v5, vcc
	v_lshlrev_b32_e32 v19, 3, v19
	v_cmp_gt_i64_e64 s[14:15], v[0:1], v[10:11]
	v_add_co_u32_e32 v4, vcc, v4, v19
	v_cndmask_b32_e64 v19, 0, 1, s[12:13]
	v_addc_co_u32_e32 v5, vcc, 0, v5, vcc
	v_lshlrev_b32_e32 v19, 3, v19
	v_add_co_u32_e32 v4, vcc, v4, v19
	v_cndmask_b32_e64 v19, 0, 1, s[14:15]
	v_addc_co_u32_e32 v5, vcc, 0, v5, vcc
	v_lshlrev_b32_e32 v19, 3, v19
	;; [unrolled: 4-line block ×3, first 2 shown]
	ds_read_b128 v[6:9], v14 offset:96
	ds_read_b128 v[10:13], v14 offset:112
	v_add_co_u32_e32 v4, vcc, v4, v19
	v_cndmask_b32_e64 v19, 0, 1, s[18:19]
	v_addc_co_u32_e32 v5, vcc, 0, v5, vcc
	v_lshlrev_b32_e32 v19, 3, v19
	v_add_co_u32_e32 v4, vcc, v4, v19
	v_addc_co_u32_e32 v5, vcc, 0, v5, vcc
	s_waitcnt lgkmcnt(1)
	v_cmp_gt_i64_e32 vcc, v[0:1], v[6:7]
	v_cndmask_b32_e64 v6, 0, 1, vcc
	v_lshlrev_b32_e32 v6, 3, v6
	v_add_co_u32_e32 v4, vcc, v4, v6
	v_addc_co_u32_e32 v5, vcc, 0, v5, vcc
	v_cmp_gt_i64_e32 vcc, v[0:1], v[8:9]
	v_cndmask_b32_e64 v6, 0, 1, vcc
	v_lshlrev_b32_e32 v6, 3, v6
	v_add_co_u32_e32 v4, vcc, v4, v6
	v_addc_co_u32_e32 v5, vcc, 0, v5, vcc
	s_waitcnt lgkmcnt(0)
	v_cmp_gt_i64_e32 vcc, v[0:1], v[10:11]
	v_cndmask_b32_e64 v6, 0, 1, vcc
	v_lshlrev_b32_e32 v6, 3, v6
	v_add_co_u32_e32 v4, vcc, v4, v6
	v_addc_co_u32_e32 v5, vcc, 0, v5, vcc
	v_cmp_gt_i64_e32 vcc, v[0:1], v[12:13]
	v_cndmask_b32_e64 v0, 0, 1, vcc
	v_lshlrev_b32_e32 v0, 3, v0
	v_add_co_u32_e32 v0, vcc, v4, v0
	v_addc_co_u32_e32 v1, vcc, 0, v5, vcc
	global_store_dwordx2 v[0:1], v[17:18], off
	s_branch .LBB50_35
.LBB50_38:
	s_endpgm
	.section	.rodata,"a",@progbits
	.p2align	6, 0x0
	.amdhsa_kernel _ZN9rocsparseL32csrgemm_symbolic_fill_wf_per_rowILj256ELj8ELj16ELj137EllEEvT4_S1_PKS1_S3_PKT3_S3_S6_S3_S6_S3_S6_PS1_21rocsparse_index_base_S8_S8_S8_bb
		.amdhsa_group_segment_fixed_size 4096
		.amdhsa_private_segment_fixed_size 0
		.amdhsa_kernarg_size 116
		.amdhsa_user_sgpr_count 6
		.amdhsa_user_sgpr_private_segment_buffer 1
		.amdhsa_user_sgpr_dispatch_ptr 0
		.amdhsa_user_sgpr_queue_ptr 0
		.amdhsa_user_sgpr_kernarg_segment_ptr 1
		.amdhsa_user_sgpr_dispatch_id 0
		.amdhsa_user_sgpr_flat_scratch_init 0
		.amdhsa_user_sgpr_private_segment_size 0
		.amdhsa_uses_dynamic_stack 0
		.amdhsa_system_sgpr_private_segment_wavefront_offset 0
		.amdhsa_system_sgpr_workgroup_id_x 1
		.amdhsa_system_sgpr_workgroup_id_y 0
		.amdhsa_system_sgpr_workgroup_id_z 0
		.amdhsa_system_sgpr_workgroup_info 0
		.amdhsa_system_vgpr_workitem_id 0
		.amdhsa_next_free_vgpr 22
		.amdhsa_next_free_sgpr 44
		.amdhsa_reserve_vcc 1
		.amdhsa_reserve_flat_scratch 0
		.amdhsa_float_round_mode_32 0
		.amdhsa_float_round_mode_16_64 0
		.amdhsa_float_denorm_mode_32 3
		.amdhsa_float_denorm_mode_16_64 3
		.amdhsa_dx10_clamp 1
		.amdhsa_ieee_mode 1
		.amdhsa_fp16_overflow 0
		.amdhsa_exception_fp_ieee_invalid_op 0
		.amdhsa_exception_fp_denorm_src 0
		.amdhsa_exception_fp_ieee_div_zero 0
		.amdhsa_exception_fp_ieee_overflow 0
		.amdhsa_exception_fp_ieee_underflow 0
		.amdhsa_exception_fp_ieee_inexact 0
		.amdhsa_exception_int_div_zero 0
	.end_amdhsa_kernel
	.section	.text._ZN9rocsparseL32csrgemm_symbolic_fill_wf_per_rowILj256ELj8ELj16ELj137EllEEvT4_S1_PKS1_S3_PKT3_S3_S6_S3_S6_S3_S6_PS1_21rocsparse_index_base_S8_S8_S8_bb,"axG",@progbits,_ZN9rocsparseL32csrgemm_symbolic_fill_wf_per_rowILj256ELj8ELj16ELj137EllEEvT4_S1_PKS1_S3_PKT3_S3_S6_S3_S6_S3_S6_PS1_21rocsparse_index_base_S8_S8_S8_bb,comdat
.Lfunc_end50:
	.size	_ZN9rocsparseL32csrgemm_symbolic_fill_wf_per_rowILj256ELj8ELj16ELj137EllEEvT4_S1_PKS1_S3_PKT3_S3_S6_S3_S6_S3_S6_PS1_21rocsparse_index_base_S8_S8_S8_bb, .Lfunc_end50-_ZN9rocsparseL32csrgemm_symbolic_fill_wf_per_rowILj256ELj8ELj16ELj137EllEEvT4_S1_PKS1_S3_PKT3_S3_S6_S3_S6_S3_S6_PS1_21rocsparse_index_base_S8_S8_S8_bb
                                        ; -- End function
	.set _ZN9rocsparseL32csrgemm_symbolic_fill_wf_per_rowILj256ELj8ELj16ELj137EllEEvT4_S1_PKS1_S3_PKT3_S3_S6_S3_S6_S3_S6_PS1_21rocsparse_index_base_S8_S8_S8_bb.num_vgpr, 22
	.set _ZN9rocsparseL32csrgemm_symbolic_fill_wf_per_rowILj256ELj8ELj16ELj137EllEEvT4_S1_PKS1_S3_PKT3_S3_S6_S3_S6_S3_S6_PS1_21rocsparse_index_base_S8_S8_S8_bb.num_agpr, 0
	.set _ZN9rocsparseL32csrgemm_symbolic_fill_wf_per_rowILj256ELj8ELj16ELj137EllEEvT4_S1_PKS1_S3_PKT3_S3_S6_S3_S6_S3_S6_PS1_21rocsparse_index_base_S8_S8_S8_bb.numbered_sgpr, 44
	.set _ZN9rocsparseL32csrgemm_symbolic_fill_wf_per_rowILj256ELj8ELj16ELj137EllEEvT4_S1_PKS1_S3_PKT3_S3_S6_S3_S6_S3_S6_PS1_21rocsparse_index_base_S8_S8_S8_bb.num_named_barrier, 0
	.set _ZN9rocsparseL32csrgemm_symbolic_fill_wf_per_rowILj256ELj8ELj16ELj137EllEEvT4_S1_PKS1_S3_PKT3_S3_S6_S3_S6_S3_S6_PS1_21rocsparse_index_base_S8_S8_S8_bb.private_seg_size, 0
	.set _ZN9rocsparseL32csrgemm_symbolic_fill_wf_per_rowILj256ELj8ELj16ELj137EllEEvT4_S1_PKS1_S3_PKT3_S3_S6_S3_S6_S3_S6_PS1_21rocsparse_index_base_S8_S8_S8_bb.uses_vcc, 1
	.set _ZN9rocsparseL32csrgemm_symbolic_fill_wf_per_rowILj256ELj8ELj16ELj137EllEEvT4_S1_PKS1_S3_PKT3_S3_S6_S3_S6_S3_S6_PS1_21rocsparse_index_base_S8_S8_S8_bb.uses_flat_scratch, 0
	.set _ZN9rocsparseL32csrgemm_symbolic_fill_wf_per_rowILj256ELj8ELj16ELj137EllEEvT4_S1_PKS1_S3_PKT3_S3_S6_S3_S6_S3_S6_PS1_21rocsparse_index_base_S8_S8_S8_bb.has_dyn_sized_stack, 0
	.set _ZN9rocsparseL32csrgemm_symbolic_fill_wf_per_rowILj256ELj8ELj16ELj137EllEEvT4_S1_PKS1_S3_PKT3_S3_S6_S3_S6_S3_S6_PS1_21rocsparse_index_base_S8_S8_S8_bb.has_recursion, 0
	.set _ZN9rocsparseL32csrgemm_symbolic_fill_wf_per_rowILj256ELj8ELj16ELj137EllEEvT4_S1_PKS1_S3_PKT3_S3_S6_S3_S6_S3_S6_PS1_21rocsparse_index_base_S8_S8_S8_bb.has_indirect_call, 0
	.section	.AMDGPU.csdata,"",@progbits
; Kernel info:
; codeLenInByte = 1688
; TotalNumSgprs: 48
; NumVgprs: 22
; ScratchSize: 0
; MemoryBound: 0
; FloatMode: 240
; IeeeMode: 1
; LDSByteSize: 4096 bytes/workgroup (compile time only)
; SGPRBlocks: 5
; VGPRBlocks: 5
; NumSGPRsForWavesPerEU: 48
; NumVGPRsForWavesPerEU: 22
; Occupancy: 10
; WaveLimiterHint : 1
; COMPUTE_PGM_RSRC2:SCRATCH_EN: 0
; COMPUTE_PGM_RSRC2:USER_SGPR: 6
; COMPUTE_PGM_RSRC2:TRAP_HANDLER: 0
; COMPUTE_PGM_RSRC2:TGID_X_EN: 1
; COMPUTE_PGM_RSRC2:TGID_Y_EN: 0
; COMPUTE_PGM_RSRC2:TGID_Z_EN: 0
; COMPUTE_PGM_RSRC2:TIDIG_COMP_CNT: 0
	.section	.text._ZN9rocsparseL32csrgemm_symbolic_fill_wf_per_rowILj256ELj16ELj32ELj137EllEEvT4_S1_PKS1_S3_PKT3_S3_S6_S3_S6_S3_S6_PS1_21rocsparse_index_base_S8_S8_S8_bb,"axG",@progbits,_ZN9rocsparseL32csrgemm_symbolic_fill_wf_per_rowILj256ELj16ELj32ELj137EllEEvT4_S1_PKS1_S3_PKT3_S3_S6_S3_S6_S3_S6_PS1_21rocsparse_index_base_S8_S8_S8_bb,comdat
	.globl	_ZN9rocsparseL32csrgemm_symbolic_fill_wf_per_rowILj256ELj16ELj32ELj137EllEEvT4_S1_PKS1_S3_PKT3_S3_S6_S3_S6_S3_S6_PS1_21rocsparse_index_base_S8_S8_S8_bb ; -- Begin function _ZN9rocsparseL32csrgemm_symbolic_fill_wf_per_rowILj256ELj16ELj32ELj137EllEEvT4_S1_PKS1_S3_PKT3_S3_S6_S3_S6_S3_S6_PS1_21rocsparse_index_base_S8_S8_S8_bb
	.p2align	8
	.type	_ZN9rocsparseL32csrgemm_symbolic_fill_wf_per_rowILj256ELj16ELj32ELj137EllEEvT4_S1_PKS1_S3_PKT3_S3_S6_S3_S6_S3_S6_PS1_21rocsparse_index_base_S8_S8_S8_bb,@function
_ZN9rocsparseL32csrgemm_symbolic_fill_wf_per_rowILj256ELj16ELj32ELj137EllEEvT4_S1_PKS1_S3_PKT3_S3_S6_S3_S6_S3_S6_PS1_21rocsparse_index_base_S8_S8_S8_bb: ; @_ZN9rocsparseL32csrgemm_symbolic_fill_wf_per_rowILj256ELj16ELj32ELj137EllEEvT4_S1_PKS1_S3_PKT3_S3_S6_S3_S6_S3_S6_PS1_21rocsparse_index_base_S8_S8_S8_bb
; %bb.0:
	s_load_dwordx8 s[8:15], s[4:5], 0x40
	s_load_dwordx8 s[56:63], s[4:5], 0x0
	;; [unrolled: 1-line block ×3, first 2 shown]
	v_lshrrev_b32_e32 v2, 4, v0
	v_and_b32_e32 v17, 15, v0
	v_lshlrev_b32_e32 v14, 8, v2
	v_or_b32_e32 v15, -16, v17
	v_lshl_or_b32 v16, v17, 3, v14
	s_waitcnt lgkmcnt(0)
	v_mov_b32_e32 v0, s58
	s_mov_b64 s[0:1], 0
	v_mov_b32_e32 v1, s59
	v_mov_b32_e32 v3, v16
	;; [unrolled: 1-line block ×3, first 2 shown]
.LBB51_1:                               ; =>This Inner Loop Header: Depth=1
	v_add_co_u32_e32 v4, vcc, 16, v4
	s_xor_b64 s[2:3], vcc, -1
	s_and_b64 s[2:3], exec, s[2:3]
	ds_write_b64 v3, v[0:1]
	s_or_b64 s[0:1], s[2:3], s[0:1]
	v_add_u32_e32 v3, 0x80, v3
	s_andn2_b64 exec, exec, s[0:1]
	s_cbranch_execnz .LBB51_1
; %bb.2:
	s_or_b64 exec, exec, s[0:1]
	s_lshl_b32 s0, s6, 4
	s_and_b32 s0, s0, 0xffffff0
	v_or_b32_e32 v0, s0, v2
	v_mov_b32_e32 v1, 0
	v_cmp_gt_i64_e32 vcc, s[56:57], v[0:1]
	s_waitcnt lgkmcnt(0)
	s_and_saveexec_b64 s[0:1], vcc
	s_cbranch_execz .LBB51_38
; %bb.3:
	s_cmp_eq_u64 s[62:63], 0
	s_cbranch_scc1 .LBB51_5
; %bb.4:
	s_load_dwordx2 s[0:1], s[60:61], 0x0
	v_lshlrev_b32_e32 v0, 3, v0
	s_waitcnt lgkmcnt(0)
	s_lshl_b64 s[0:1], s[0:1], 3
	s_add_u32 s0, s62, s0
	s_addc_u32 s1, s63, s1
	global_load_dwordx2 v[0:1], v0, s[0:1]
.LBB51_5:
	s_load_dword s33, s[4:5], 0x70
	s_load_dwordx4 s[60:63], s[4:5], 0x60
	s_waitcnt vmcnt(0)
	v_lshlrev_b64 v[4:5], 3, v[0:1]
	s_waitcnt lgkmcnt(0)
	s_bitcmp0_b32 s33, 0
	s_cbranch_scc1 .LBB51_21
; %bb.6:
	v_mov_b32_e32 v1, s17
	v_add_co_u32_e32 v0, vcc, s16, v4
	v_addc_co_u32_e32 v1, vcc, v1, v5, vcc
	global_load_dwordx4 v[0:3], v[0:1], off
	v_subrev_co_u32_e32 v8, vcc, s60, v17
	v_subb_co_u32_e64 v9, s[0:1], 0, 0, vcc
	s_waitcnt vmcnt(0)
	v_subrev_co_u32_e32 v6, vcc, s60, v2
	v_subbrev_co_u32_e32 v7, vcc, 0, v3, vcc
	v_add_co_u32_e32 v8, vcc, v0, v8
	v_addc_co_u32_e32 v9, vcc, v1, v9, vcc
	v_cmp_lt_i64_e32 vcc, v[8:9], v[6:7]
	s_and_saveexec_b64 s[0:1], vcc
	s_cbranch_execz .LBB51_20
; %bb.7:
	s_mov_b32 s34, s61
	s_mov_b64 s[2:3], 0
	v_mov_b32_e32 v18, s19
	v_mov_b32_e32 v19, s21
	s_branch .LBB51_9
.LBB51_8:                               ;   in Loop: Header=BB51_9 Depth=1
	s_or_b64 exec, exec, s[4:5]
	v_add_co_u32_e32 v8, vcc, 16, v8
	v_addc_co_u32_e32 v9, vcc, 0, v9, vcc
	v_cmp_ge_i64_e32 vcc, v[8:9], v[6:7]
	s_or_b64 s[2:3], vcc, s[2:3]
	s_andn2_b64 exec, exec, s[2:3]
	s_cbranch_execz .LBB51_20
.LBB51_9:                               ; =>This Loop Header: Depth=1
                                        ;     Child Loop BB51_12 Depth 2
                                        ;       Child Loop BB51_15 Depth 3
	v_lshlrev_b64 v[0:1], 3, v[8:9]
	v_add_co_u32_e32 v0, vcc, s18, v0
	v_addc_co_u32_e32 v1, vcc, v18, v1, vcc
	global_load_dwordx2 v[0:1], v[0:1], off
	s_waitcnt vmcnt(0)
	v_subrev_co_u32_e32 v0, vcc, s60, v0
	v_subbrev_co_u32_e32 v1, vcc, 0, v1, vcc
	v_lshlrev_b64 v[0:1], 3, v[0:1]
	v_add_co_u32_e32 v0, vcc, s20, v0
	v_addc_co_u32_e32 v1, vcc, v19, v1, vcc
	global_load_dwordx4 v[0:3], v[0:1], off
	s_waitcnt vmcnt(0)
	v_cmp_lt_i64_e32 vcc, v[0:1], v[2:3]
	s_and_saveexec_b64 s[4:5], vcc
	s_cbranch_execz .LBB51_8
; %bb.10:                               ;   in Loop: Header=BB51_9 Depth=1
	v_subrev_co_u32_e32 v2, vcc, s34, v2
	v_subbrev_co_u32_e32 v3, vcc, 0, v3, vcc
	v_subrev_co_u32_e32 v0, vcc, s34, v0
	v_subbrev_co_u32_e32 v1, vcc, 0, v1, vcc
	s_mov_b64 s[6:7], 0
	s_branch .LBB51_12
.LBB51_11:                              ;   in Loop: Header=BB51_12 Depth=2
	s_or_b64 exec, exec, s[24:25]
	v_add_co_u32_e32 v0, vcc, 1, v0
	v_addc_co_u32_e32 v1, vcc, 0, v1, vcc
	v_cmp_ge_i64_e32 vcc, v[0:1], v[2:3]
	s_or_b64 s[6:7], vcc, s[6:7]
	s_andn2_b64 exec, exec, s[6:7]
	s_cbranch_execz .LBB51_8
.LBB51_12:                              ;   Parent Loop BB51_9 Depth=1
                                        ; =>  This Loop Header: Depth=2
                                        ;       Child Loop BB51_15 Depth 3
	v_lshlrev_b64 v[10:11], 3, v[0:1]
	v_mov_b32_e32 v12, s23
	v_add_co_u32_e32 v10, vcc, s22, v10
	v_addc_co_u32_e32 v11, vcc, v12, v11, vcc
	global_load_dwordx2 v[10:11], v[10:11], off
	s_mov_b64 s[24:25], 0
                                        ; implicit-def: $sgpr16_sgpr17
	s_waitcnt vmcnt(0)
	v_subrev_co_u32_e32 v10, vcc, s34, v10
	v_lshl_add_u32 v12, v10, 3, v10
	v_subbrev_co_u32_e32 v11, vcc, 0, v11, vcc
	v_and_b32_e32 v20, 31, v12
	s_branch .LBB51_15
.LBB51_13:                              ;   in Loop: Header=BB51_15 Depth=3
	s_or_b64 exec, exec, s[28:29]
	s_andn2_b64 s[16:17], s[16:17], exec
	s_and_b64 s[28:29], s[30:31], exec
	s_or_b64 s[16:17], s[16:17], s[28:29]
.LBB51_14:                              ;   in Loop: Header=BB51_15 Depth=3
	s_or_b64 exec, exec, s[26:27]
	s_xor_b64 s[26:27], s[16:17], -1
	s_and_b64 s[26:27], exec, s[26:27]
	s_or_b64 s[24:25], s[26:27], s[24:25]
	s_andn2_b64 exec, exec, s[24:25]
	s_cbranch_execz .LBB51_11
.LBB51_15:                              ;   Parent Loop BB51_9 Depth=1
                                        ;     Parent Loop BB51_12 Depth=2
                                        ; =>    This Inner Loop Header: Depth=3
	v_lshl_add_u32 v21, v20, 3, v14
	ds_read_b64 v[12:13], v21
	s_andn2_b64 s[16:17], s[16:17], exec
	s_waitcnt lgkmcnt(0)
	v_cmp_ne_u64_e32 vcc, v[12:13], v[10:11]
	s_and_saveexec_b64 s[26:27], vcc
	s_cbranch_execz .LBB51_14
; %bb.16:                               ;   in Loop: Header=BB51_15 Depth=3
	v_cmp_ne_u64_e32 vcc, s[58:59], v[12:13]
	s_and_saveexec_b64 s[28:29], vcc
	s_xor_b64 s[28:29], exec, s[28:29]
; %bb.17:                               ;   in Loop: Header=BB51_15 Depth=3
	v_add_u32_e32 v12, 1, v20
	v_and_b32_e32 v20, 31, v12
                                        ; implicit-def: $vgpr21
; %bb.18:                               ;   in Loop: Header=BB51_15 Depth=3
	s_or_saveexec_b64 s[28:29], s[28:29]
	s_mov_b64 s[30:31], -1
	s_xor_b64 exec, exec, s[28:29]
	s_cbranch_execz .LBB51_13
; %bb.19:                               ;   in Loop: Header=BB51_15 Depth=3
	v_mov_b32_e32 v12, s58
	v_mov_b32_e32 v13, s59
	ds_cmpst_rtn_b64 v[12:13], v21, v[12:13], v[10:11]
	s_waitcnt lgkmcnt(0)
	v_cmp_ne_u64_e32 vcc, s[58:59], v[12:13]
	s_orn2_b64 s[30:31], vcc, exec
	s_branch .LBB51_13
.LBB51_20:
	s_or_b64 exec, exec, s[0:1]
.LBB51_21:
	s_bfe_u32 s0, s33, 0x10008
	s_cmp_eq_u32 s0, 0
	s_cbranch_scc1 .LBB51_34
; %bb.22:
	v_mov_b32_e32 v1, s9
	v_add_co_u32_e32 v0, vcc, s8, v4
	v_addc_co_u32_e32 v1, vcc, v1, v5, vcc
	global_load_dwordx4 v[6:9], v[0:1], off
	v_subrev_co_u32_e32 v2, vcc, s63, v17
	v_subb_co_u32_e64 v3, s[0:1], 0, 0, vcc
	s_waitcnt vmcnt(0)
	v_subrev_co_u32_e32 v0, vcc, s63, v8
	v_subbrev_co_u32_e32 v1, vcc, 0, v9, vcc
	v_add_co_u32_e32 v2, vcc, v6, v2
	v_addc_co_u32_e32 v3, vcc, v7, v3, vcc
	v_cmp_lt_i64_e32 vcc, v[2:3], v[0:1]
	s_and_saveexec_b64 s[0:1], vcc
	s_cbranch_execz .LBB51_33
; %bb.23:
	s_mov_b32 s20, s63
	s_mov_b64 s[2:3], 0
	v_mov_b32_e32 v10, s11
	s_branch .LBB51_25
.LBB51_24:                              ;   in Loop: Header=BB51_25 Depth=1
	s_or_b64 exec, exec, s[6:7]
	v_add_co_u32_e32 v2, vcc, 16, v2
	v_addc_co_u32_e32 v3, vcc, 0, v3, vcc
	v_cmp_ge_i64_e32 vcc, v[2:3], v[0:1]
	s_or_b64 s[2:3], vcc, s[2:3]
	s_andn2_b64 exec, exec, s[2:3]
	s_cbranch_execz .LBB51_33
.LBB51_25:                              ; =>This Loop Header: Depth=1
                                        ;     Child Loop BB51_28 Depth 2
	v_lshlrev_b64 v[6:7], 3, v[2:3]
	s_mov_b64 s[6:7], 0
	v_add_co_u32_e32 v6, vcc, s10, v6
	v_addc_co_u32_e32 v7, vcc, v10, v7, vcc
	global_load_dwordx2 v[6:7], v[6:7], off
                                        ; implicit-def: $sgpr4_sgpr5
	s_waitcnt vmcnt(0)
	v_subrev_co_u32_e32 v6, vcc, s20, v6
	v_lshl_add_u32 v8, v6, 3, v6
	v_subbrev_co_u32_e32 v7, vcc, 0, v7, vcc
	v_and_b32_e32 v11, 31, v8
	s_branch .LBB51_28
.LBB51_26:                              ;   in Loop: Header=BB51_28 Depth=2
	s_or_b64 exec, exec, s[16:17]
	s_andn2_b64 s[4:5], s[4:5], exec
	s_and_b64 s[16:17], s[18:19], exec
	s_or_b64 s[4:5], s[4:5], s[16:17]
.LBB51_27:                              ;   in Loop: Header=BB51_28 Depth=2
	s_or_b64 exec, exec, s[8:9]
	s_xor_b64 s[8:9], s[4:5], -1
	s_and_b64 s[8:9], exec, s[8:9]
	s_or_b64 s[6:7], s[8:9], s[6:7]
	s_andn2_b64 exec, exec, s[6:7]
	s_cbranch_execz .LBB51_24
.LBB51_28:                              ;   Parent Loop BB51_25 Depth=1
                                        ; =>  This Inner Loop Header: Depth=2
	v_lshl_add_u32 v12, v11, 3, v14
	ds_read_b64 v[8:9], v12
	s_andn2_b64 s[4:5], s[4:5], exec
	s_waitcnt lgkmcnt(0)
	v_cmp_ne_u64_e32 vcc, v[8:9], v[6:7]
	s_and_saveexec_b64 s[8:9], vcc
	s_cbranch_execz .LBB51_27
; %bb.29:                               ;   in Loop: Header=BB51_28 Depth=2
	v_cmp_ne_u64_e32 vcc, s[58:59], v[8:9]
	s_and_saveexec_b64 s[16:17], vcc
	s_xor_b64 s[16:17], exec, s[16:17]
; %bb.30:                               ;   in Loop: Header=BB51_28 Depth=2
	v_add_u32_e32 v8, 1, v11
	v_and_b32_e32 v11, 31, v8
                                        ; implicit-def: $vgpr12
; %bb.31:                               ;   in Loop: Header=BB51_28 Depth=2
	s_or_saveexec_b64 s[16:17], s[16:17]
	s_mov_b64 s[18:19], -1
	s_xor_b64 exec, exec, s[16:17]
	s_cbranch_execz .LBB51_26
; %bb.32:                               ;   in Loop: Header=BB51_28 Depth=2
	v_mov_b32_e32 v8, s58
	v_mov_b32_e32 v9, s59
	ds_cmpst_rtn_b64 v[8:9], v12, v[8:9], v[6:7]
	s_waitcnt lgkmcnt(0)
	v_cmp_ne_u64_e32 vcc, s[58:59], v[8:9]
	s_orn2_b64 s[18:19], vcc, exec
	s_branch .LBB51_26
.LBB51_33:
	s_or_b64 exec, exec, s[0:1]
.LBB51_34:
	v_mov_b32_e32 v1, s13
	v_add_co_u32_e32 v0, vcc, s12, v4
	v_addc_co_u32_e32 v1, vcc, v1, v5, vcc
	global_load_dwordx2 v[0:1], v[0:1], off
	v_mov_b32_e32 v3, s15
	s_mov_b64 s[56:57], 0
	s_waitcnt vmcnt(0)
	v_subrev_co_u32_e32 v0, vcc, s62, v0
	v_subbrev_co_u32_e32 v1, vcc, 0, v1, vcc
	v_lshlrev_b64 v[0:1], 3, v[0:1]
	v_add_co_u32_e32 v2, vcc, s14, v0
	v_addc_co_u32_e32 v3, vcc, v3, v1, vcc
	s_branch .LBB51_36
.LBB51_35:                              ;   in Loop: Header=BB51_36 Depth=1
	s_or_b64 exec, exec, s[60:61]
	v_add_co_u32_e32 v15, vcc, 16, v15
	s_xor_b64 s[0:1], vcc, -1
	s_and_b64 s[0:1], exec, s[0:1]
	s_or_b64 s[56:57], s[0:1], s[56:57]
	v_add_u32_e32 v16, 0x80, v16
	s_andn2_b64 exec, exec, s[56:57]
	s_cbranch_execz .LBB51_38
.LBB51_36:                              ; =>This Inner Loop Header: Depth=1
	ds_read_b64 v[0:1], v16
	s_waitcnt lgkmcnt(0)
	v_cmp_gt_i64_e32 vcc, s[58:59], v[0:1]
	s_and_saveexec_b64 s[60:61], vcc
	s_cbranch_execz .LBB51_35
; %bb.37:                               ;   in Loop: Header=BB51_36 Depth=1
	ds_read_b128 v[4:7], v14 offset:16
	ds_read_b128 v[8:11], v14 offset:32
	ds_read_b128 v[17:20], v14 offset:48
	v_add_co_u32_e64 v12, s[54:55], s62, v0
	s_waitcnt lgkmcnt(2)
	v_cmp_gt_i64_e64 s[2:3], v[0:1], v[4:5]
	s_waitcnt lgkmcnt(1)
	v_cmp_gt_i64_e64 s[0:1], v[0:1], v[8:9]
	v_cmp_gt_i64_e64 s[12:13], v[0:1], v[10:11]
	s_waitcnt lgkmcnt(0)
	v_cmp_gt_i64_e64 s[4:5], v[0:1], v[17:18]
	ds_read_b128 v[8:11], v14 offset:80
	v_cmp_gt_i64_e64 s[16:17], v[0:1], v[19:20]
	ds_read_b128 v[17:20], v14 offset:96
	v_cmp_gt_i64_e32 vcc, v[0:1], v[6:7]
	ds_read_b128 v[4:7], v14 offset:64
	v_addc_co_u32_e64 v13, s[54:55], 0, v1, s[54:55]
	s_waitcnt lgkmcnt(1)
	v_cmp_gt_i64_e64 s[14:15], v[0:1], v[17:18]
	v_cmp_gt_i64_e64 s[38:39], v[0:1], v[19:20]
	ds_read_b128 v[17:20], v14 offset:144
	v_cmp_gt_i64_e64 s[8:9], v[0:1], v[8:9]
	v_cmp_gt_i64_e64 s[30:31], v[0:1], v[10:11]
	ds_read_b128 v[8:11], v14 offset:128
	s_waitcnt lgkmcnt(1)
	v_cmp_gt_i64_e64 s[34:35], v[0:1], v[17:18]
	v_cmp_gt_i64_e64 s[48:49], v[0:1], v[19:20]
	ds_read_b128 v[17:20], v14
	v_cmp_gt_i64_e64 s[6:7], v[0:1], v[4:5]
	v_cmp_gt_i64_e64 s[20:21], v[0:1], v[6:7]
	ds_read_b128 v[4:7], v14 offset:112
	s_waitcnt lgkmcnt(2)
	v_cmp_gt_i64_e64 s[22:23], v[0:1], v[8:9]
	s_waitcnt lgkmcnt(1)
	v_cmp_gt_i64_e64 s[54:55], v[0:1], v[17:18]
	v_cmp_gt_i64_e64 s[52:53], v[0:1], v[19:20]
	v_cndmask_b32_e64 v17, 0, 1, s[54:55]
	v_lshlrev_b32_e32 v17, 3, v17
	v_cndmask_b32_e64 v19, 0, 1, s[52:53]
	v_add_co_u32_e64 v17, s[54:55], v2, v17
	v_lshlrev_b32_e32 v19, 3, v19
	v_add_co_u32_e64 v17, s[52:53], v17, v19
	v_cndmask_b32_e64 v19, 0, 1, s[2:3]
	v_lshlrev_b32_e32 v19, 3, v19
	v_addc_co_u32_e64 v18, s[54:55], 0, v3, s[54:55]
	v_add_co_u32_e64 v17, s[2:3], v17, v19
	v_cndmask_b32_e64 v19, 0, 1, vcc
	v_addc_co_u32_e64 v18, s[52:53], 0, v18, s[52:53]
	v_lshlrev_b32_e32 v19, 3, v19
	v_addc_co_u32_e64 v18, s[2:3], 0, v18, s[2:3]
	v_add_co_u32_e32 v17, vcc, v17, v19
	v_cndmask_b32_e64 v19, 0, 1, s[0:1]
	v_addc_co_u32_e32 v18, vcc, 0, v18, vcc
	v_lshlrev_b32_e32 v19, 3, v19
	v_add_co_u32_e32 v17, vcc, v17, v19
	v_cndmask_b32_e64 v19, 0, 1, s[12:13]
	v_addc_co_u32_e32 v18, vcc, 0, v18, vcc
	v_lshlrev_b32_e32 v19, 3, v19
	;; [unrolled: 4-line block ×9, first 2 shown]
	s_waitcnt lgkmcnt(0)
	v_cmp_gt_i64_e64 s[18:19], v[0:1], v[4:5]
	v_add_co_u32_e32 v17, vcc, v17, v19
	v_cndmask_b32_e64 v19, 0, 1, s[38:39]
	v_addc_co_u32_e32 v18, vcc, 0, v18, vcc
	v_lshlrev_b32_e32 v19, 3, v19
	v_cmp_gt_i64_e64 s[42:43], v[0:1], v[6:7]
	v_add_co_u32_e32 v17, vcc, v17, v19
	v_cndmask_b32_e64 v19, 0, 1, s[18:19]
	v_addc_co_u32_e32 v18, vcc, 0, v18, vcc
	v_lshlrev_b32_e32 v19, 3, v19
	v_add_co_u32_e32 v17, vcc, v17, v19
	v_cndmask_b32_e64 v19, 0, 1, s[42:43]
	v_addc_co_u32_e32 v18, vcc, 0, v18, vcc
	v_lshlrev_b32_e32 v19, 3, v19
	v_cmp_gt_i64_e64 s[10:11], v[0:1], v[10:11]
	v_add_co_u32_e32 v17, vcc, v17, v19
	v_cndmask_b32_e64 v19, 0, 1, s[22:23]
	ds_read_b128 v[4:7], v14 offset:160
	ds_read_b128 v[8:11], v14 offset:176
	v_addc_co_u32_e32 v18, vcc, 0, v18, vcc
	v_lshlrev_b32_e32 v19, 3, v19
	v_add_co_u32_e32 v17, vcc, v17, v19
	v_cndmask_b32_e64 v19, 0, 1, s[10:11]
	v_addc_co_u32_e32 v18, vcc, 0, v18, vcc
	v_lshlrev_b32_e32 v19, 3, v19
	v_add_co_u32_e32 v17, vcc, v17, v19
	v_cndmask_b32_e64 v19, 0, 1, s[34:35]
	v_addc_co_u32_e32 v18, vcc, 0, v18, vcc
	v_lshlrev_b32_e32 v19, 3, v19
	s_waitcnt lgkmcnt(1)
	v_cmp_gt_i64_e64 s[44:45], v[0:1], v[4:5]
	v_add_co_u32_e32 v17, vcc, v17, v19
	v_cndmask_b32_e64 v19, 0, 1, s[48:49]
	v_addc_co_u32_e32 v18, vcc, 0, v18, vcc
	v_lshlrev_b32_e32 v19, 3, v19
	v_cmp_gt_i64_e64 s[24:25], v[0:1], v[6:7]
	v_add_co_u32_e32 v17, vcc, v17, v19
	v_cndmask_b32_e64 v19, 0, 1, s[44:45]
	ds_read_b128 v[4:7], v14 offset:192
	v_addc_co_u32_e32 v18, vcc, 0, v18, vcc
	v_lshlrev_b32_e32 v19, 3, v19
	s_waitcnt lgkmcnt(1)
	v_cmp_gt_i64_e64 s[36:37], v[0:1], v[8:9]
	v_add_co_u32_e32 v17, vcc, v17, v19
	v_cndmask_b32_e64 v19, 0, 1, s[24:25]
	v_addc_co_u32_e32 v18, vcc, 0, v18, vcc
	v_lshlrev_b32_e32 v19, 3, v19
	v_cmp_gt_i64_e64 s[26:27], v[0:1], v[10:11]
	v_add_co_u32_e32 v17, vcc, v17, v19
	v_cndmask_b32_e64 v19, 0, 1, s[36:37]
	ds_read_b128 v[8:11], v14 offset:208
	v_addc_co_u32_e32 v18, vcc, 0, v18, vcc
	v_lshlrev_b32_e32 v19, 3, v19
	s_waitcnt lgkmcnt(1)
	v_cmp_gt_i64_e64 s[50:51], v[0:1], v[4:5]
	v_add_co_u32_e32 v17, vcc, v17, v19
	v_cndmask_b32_e64 v19, 0, 1, s[26:27]
	v_addc_co_u32_e32 v18, vcc, 0, v18, vcc
	v_lshlrev_b32_e32 v19, 3, v19
	v_cmp_gt_i64_e64 s[40:41], v[0:1], v[6:7]
	v_add_co_u32_e32 v17, vcc, v17, v19
	v_cndmask_b32_e64 v19, 0, 1, s[50:51]
	v_addc_co_u32_e32 v18, vcc, 0, v18, vcc
	v_lshlrev_b32_e32 v19, 3, v19
	s_waitcnt lgkmcnt(0)
	v_cmp_gt_i64_e64 s[46:47], v[0:1], v[8:9]
	v_add_co_u32_e32 v17, vcc, v17, v19
	v_cndmask_b32_e64 v19, 0, 1, s[40:41]
	v_addc_co_u32_e32 v18, vcc, 0, v18, vcc
	v_lshlrev_b32_e32 v19, 3, v19
	v_cmp_gt_i64_e64 s[28:29], v[0:1], v[10:11]
	v_add_co_u32_e32 v17, vcc, v17, v19
	v_cndmask_b32_e64 v19, 0, 1, s[46:47]
	v_addc_co_u32_e32 v18, vcc, 0, v18, vcc
	v_lshlrev_b32_e32 v19, 3, v19
	ds_read_b128 v[4:7], v14 offset:224
	ds_read_b128 v[8:11], v14 offset:240
	v_add_co_u32_e32 v17, vcc, v17, v19
	v_cndmask_b32_e64 v19, 0, 1, s[28:29]
	v_addc_co_u32_e32 v18, vcc, 0, v18, vcc
	v_lshlrev_b32_e32 v19, 3, v19
	v_add_co_u32_e32 v17, vcc, v17, v19
	v_addc_co_u32_e32 v18, vcc, 0, v18, vcc
	s_waitcnt lgkmcnt(1)
	v_cmp_gt_i64_e32 vcc, v[0:1], v[4:5]
	v_cndmask_b32_e64 v4, 0, 1, vcc
	v_lshlrev_b32_e32 v4, 3, v4
	v_add_co_u32_e32 v4, vcc, v17, v4
	v_addc_co_u32_e32 v5, vcc, 0, v18, vcc
	v_cmp_gt_i64_e32 vcc, v[0:1], v[6:7]
	v_cndmask_b32_e64 v6, 0, 1, vcc
	v_lshlrev_b32_e32 v6, 3, v6
	v_add_co_u32_e32 v4, vcc, v4, v6
	v_addc_co_u32_e32 v5, vcc, 0, v5, vcc
	s_waitcnt lgkmcnt(0)
	v_cmp_gt_i64_e32 vcc, v[0:1], v[8:9]
	v_cndmask_b32_e64 v6, 0, 1, vcc
	v_lshlrev_b32_e32 v6, 3, v6
	v_add_co_u32_e32 v4, vcc, v4, v6
	v_addc_co_u32_e32 v5, vcc, 0, v5, vcc
	v_cmp_gt_i64_e32 vcc, v[0:1], v[10:11]
	v_cndmask_b32_e64 v0, 0, 1, vcc
	v_lshlrev_b32_e32 v0, 3, v0
	v_add_co_u32_e32 v0, vcc, v4, v0
	v_addc_co_u32_e32 v1, vcc, 0, v5, vcc
	global_store_dwordx2 v[0:1], v[12:13], off
	s_branch .LBB51_35
.LBB51_38:
	s_endpgm
	.section	.rodata,"a",@progbits
	.p2align	6, 0x0
	.amdhsa_kernel _ZN9rocsparseL32csrgemm_symbolic_fill_wf_per_rowILj256ELj16ELj32ELj137EllEEvT4_S1_PKS1_S3_PKT3_S3_S6_S3_S6_S3_S6_PS1_21rocsparse_index_base_S8_S8_S8_bb
		.amdhsa_group_segment_fixed_size 4096
		.amdhsa_private_segment_fixed_size 0
		.amdhsa_kernarg_size 116
		.amdhsa_user_sgpr_count 6
		.amdhsa_user_sgpr_private_segment_buffer 1
		.amdhsa_user_sgpr_dispatch_ptr 0
		.amdhsa_user_sgpr_queue_ptr 0
		.amdhsa_user_sgpr_kernarg_segment_ptr 1
		.amdhsa_user_sgpr_dispatch_id 0
		.amdhsa_user_sgpr_flat_scratch_init 0
		.amdhsa_user_sgpr_private_segment_size 0
		.amdhsa_uses_dynamic_stack 0
		.amdhsa_system_sgpr_private_segment_wavefront_offset 0
		.amdhsa_system_sgpr_workgroup_id_x 1
		.amdhsa_system_sgpr_workgroup_id_y 0
		.amdhsa_system_sgpr_workgroup_id_z 0
		.amdhsa_system_sgpr_workgroup_info 0
		.amdhsa_system_vgpr_workitem_id 0
		.amdhsa_next_free_vgpr 22
		.amdhsa_next_free_sgpr 64
		.amdhsa_reserve_vcc 1
		.amdhsa_reserve_flat_scratch 0
		.amdhsa_float_round_mode_32 0
		.amdhsa_float_round_mode_16_64 0
		.amdhsa_float_denorm_mode_32 3
		.amdhsa_float_denorm_mode_16_64 3
		.amdhsa_dx10_clamp 1
		.amdhsa_ieee_mode 1
		.amdhsa_fp16_overflow 0
		.amdhsa_exception_fp_ieee_invalid_op 0
		.amdhsa_exception_fp_denorm_src 0
		.amdhsa_exception_fp_ieee_div_zero 0
		.amdhsa_exception_fp_ieee_overflow 0
		.amdhsa_exception_fp_ieee_underflow 0
		.amdhsa_exception_fp_ieee_inexact 0
		.amdhsa_exception_int_div_zero 0
	.end_amdhsa_kernel
	.section	.text._ZN9rocsparseL32csrgemm_symbolic_fill_wf_per_rowILj256ELj16ELj32ELj137EllEEvT4_S1_PKS1_S3_PKT3_S3_S6_S3_S6_S3_S6_PS1_21rocsparse_index_base_S8_S8_S8_bb,"axG",@progbits,_ZN9rocsparseL32csrgemm_symbolic_fill_wf_per_rowILj256ELj16ELj32ELj137EllEEvT4_S1_PKS1_S3_PKT3_S3_S6_S3_S6_S3_S6_PS1_21rocsparse_index_base_S8_S8_S8_bb,comdat
.Lfunc_end51:
	.size	_ZN9rocsparseL32csrgemm_symbolic_fill_wf_per_rowILj256ELj16ELj32ELj137EllEEvT4_S1_PKS1_S3_PKT3_S3_S6_S3_S6_S3_S6_PS1_21rocsparse_index_base_S8_S8_S8_bb, .Lfunc_end51-_ZN9rocsparseL32csrgemm_symbolic_fill_wf_per_rowILj256ELj16ELj32ELj137EllEEvT4_S1_PKS1_S3_PKT3_S3_S6_S3_S6_S3_S6_PS1_21rocsparse_index_base_S8_S8_S8_bb
                                        ; -- End function
	.set _ZN9rocsparseL32csrgemm_symbolic_fill_wf_per_rowILj256ELj16ELj32ELj137EllEEvT4_S1_PKS1_S3_PKT3_S3_S6_S3_S6_S3_S6_PS1_21rocsparse_index_base_S8_S8_S8_bb.num_vgpr, 22
	.set _ZN9rocsparseL32csrgemm_symbolic_fill_wf_per_rowILj256ELj16ELj32ELj137EllEEvT4_S1_PKS1_S3_PKT3_S3_S6_S3_S6_S3_S6_PS1_21rocsparse_index_base_S8_S8_S8_bb.num_agpr, 0
	.set _ZN9rocsparseL32csrgemm_symbolic_fill_wf_per_rowILj256ELj16ELj32ELj137EllEEvT4_S1_PKS1_S3_PKT3_S3_S6_S3_S6_S3_S6_PS1_21rocsparse_index_base_S8_S8_S8_bb.numbered_sgpr, 64
	.set _ZN9rocsparseL32csrgemm_symbolic_fill_wf_per_rowILj256ELj16ELj32ELj137EllEEvT4_S1_PKS1_S3_PKT3_S3_S6_S3_S6_S3_S6_PS1_21rocsparse_index_base_S8_S8_S8_bb.num_named_barrier, 0
	.set _ZN9rocsparseL32csrgemm_symbolic_fill_wf_per_rowILj256ELj16ELj32ELj137EllEEvT4_S1_PKS1_S3_PKT3_S3_S6_S3_S6_S3_S6_PS1_21rocsparse_index_base_S8_S8_S8_bb.private_seg_size, 0
	.set _ZN9rocsparseL32csrgemm_symbolic_fill_wf_per_rowILj256ELj16ELj32ELj137EllEEvT4_S1_PKS1_S3_PKT3_S3_S6_S3_S6_S3_S6_PS1_21rocsparse_index_base_S8_S8_S8_bb.uses_vcc, 1
	.set _ZN9rocsparseL32csrgemm_symbolic_fill_wf_per_rowILj256ELj16ELj32ELj137EllEEvT4_S1_PKS1_S3_PKT3_S3_S6_S3_S6_S3_S6_PS1_21rocsparse_index_base_S8_S8_S8_bb.uses_flat_scratch, 0
	.set _ZN9rocsparseL32csrgemm_symbolic_fill_wf_per_rowILj256ELj16ELj32ELj137EllEEvT4_S1_PKS1_S3_PKT3_S3_S6_S3_S6_S3_S6_PS1_21rocsparse_index_base_S8_S8_S8_bb.has_dyn_sized_stack, 0
	.set _ZN9rocsparseL32csrgemm_symbolic_fill_wf_per_rowILj256ELj16ELj32ELj137EllEEvT4_S1_PKS1_S3_PKT3_S3_S6_S3_S6_S3_S6_PS1_21rocsparse_index_base_S8_S8_S8_bb.has_recursion, 0
	.set _ZN9rocsparseL32csrgemm_symbolic_fill_wf_per_rowILj256ELj16ELj32ELj137EllEEvT4_S1_PKS1_S3_PKT3_S3_S6_S3_S6_S3_S6_PS1_21rocsparse_index_base_S8_S8_S8_bb.has_indirect_call, 0
	.section	.AMDGPU.csdata,"",@progbits
; Kernel info:
; codeLenInByte = 2248
; TotalNumSgprs: 68
; NumVgprs: 22
; ScratchSize: 0
; MemoryBound: 0
; FloatMode: 240
; IeeeMode: 1
; LDSByteSize: 4096 bytes/workgroup (compile time only)
; SGPRBlocks: 8
; VGPRBlocks: 5
; NumSGPRsForWavesPerEU: 68
; NumVGPRsForWavesPerEU: 22
; Occupancy: 10
; WaveLimiterHint : 1
; COMPUTE_PGM_RSRC2:SCRATCH_EN: 0
; COMPUTE_PGM_RSRC2:USER_SGPR: 6
; COMPUTE_PGM_RSRC2:TRAP_HANDLER: 0
; COMPUTE_PGM_RSRC2:TGID_X_EN: 1
; COMPUTE_PGM_RSRC2:TGID_Y_EN: 0
; COMPUTE_PGM_RSRC2:TGID_Z_EN: 0
; COMPUTE_PGM_RSRC2:TIDIG_COMP_CNT: 0
	.section	.text._ZN9rocsparseL35csrgemm_symbolic_fill_block_per_rowILj128ELj16ELj256ELj137ELj32EllEEvT5_PKS1_S3_PKT4_S3_S6_S3_S6_S3_S6_PS1_21rocsparse_index_base_S8_S8_S8_bb,"axG",@progbits,_ZN9rocsparseL35csrgemm_symbolic_fill_block_per_rowILj128ELj16ELj256ELj137ELj32EllEEvT5_PKS1_S3_PKT4_S3_S6_S3_S6_S3_S6_PS1_21rocsparse_index_base_S8_S8_S8_bb,comdat
	.globl	_ZN9rocsparseL35csrgemm_symbolic_fill_block_per_rowILj128ELj16ELj256ELj137ELj32EllEEvT5_PKS1_S3_PKT4_S3_S6_S3_S6_S3_S6_PS1_21rocsparse_index_base_S8_S8_S8_bb ; -- Begin function _ZN9rocsparseL35csrgemm_symbolic_fill_block_per_rowILj128ELj16ELj256ELj137ELj32EllEEvT5_PKS1_S3_PKT4_S3_S6_S3_S6_S3_S6_PS1_21rocsparse_index_base_S8_S8_S8_bb
	.p2align	8
	.type	_ZN9rocsparseL35csrgemm_symbolic_fill_block_per_rowILj128ELj16ELj256ELj137ELj32EllEEvT5_PKS1_S3_PKT4_S3_S6_S3_S6_S3_S6_PS1_21rocsparse_index_base_S8_S8_S8_bb,@function
_ZN9rocsparseL35csrgemm_symbolic_fill_block_per_rowILj128ELj16ELj256ELj137ELj32EllEEvT5_PKS1_S3_PKT4_S3_S6_S3_S6_S3_S6_PS1_21rocsparse_index_base_S8_S8_S8_bb: ; @_ZN9rocsparseL35csrgemm_symbolic_fill_block_per_rowILj128ELj16ELj256ELj137ELj32EllEEvT5_PKS1_S3_PKT4_S3_S6_S3_S6_S3_S6_PS1_21rocsparse_index_base_S8_S8_S8_bb
; %bb.0:
	s_load_dwordx2 s[34:35], s[4:5], 0x50
	s_load_dwordx4 s[28:31], s[4:5], 0x40
	s_load_dwordx8 s[8:15], s[4:5], 0x0
	s_load_dwordx8 s[16:23], s[4:5], 0x20
	s_movk_i32 s0, 0x100
	v_cmp_gt_u32_e64 s[0:1], s0, v0
	v_lshl_add_u32 v11, v0, 3, 0
	s_and_saveexec_b64 s[2:3], s[0:1]
	s_cbranch_execz .LBB52_3
; %bb.1:
	s_waitcnt lgkmcnt(0)
	v_mov_b32_e32 v1, s8
	v_or_b32_e32 v3, 0xffffff80, v0
	v_lshl_add_u32 v4, v0, 3, 0
	s_mov_b64 s[24:25], 0
	v_mov_b32_e32 v2, s9
.LBB52_2:                               ; =>This Inner Loop Header: Depth=1
	v_add_co_u32_e32 v3, vcc, 0x80, v3
	s_xor_b64 s[26:27], vcc, -1
	s_and_b64 s[26:27], exec, s[26:27]
	ds_write_b64 v4, v[1:2]
	s_or_b64 s[24:25], s[26:27], s[24:25]
	v_add_u32_e32 v4, 0x400, v4
	s_andn2_b64 exec, exec, s[24:25]
	s_cbranch_execnz .LBB52_2
.LBB52_3:
	s_or_b64 exec, exec, s[2:3]
	s_load_dword s33, s[4:5], 0x68
	s_waitcnt lgkmcnt(0)
	s_barrier
	s_load_dwordx2 s[2:3], s[10:11], 0x0
	s_load_dwordx4 s[24:27], s[4:5], 0x58
	s_bitcmp1_b32 s33, 0
	s_cselect_b64 s[4:5], -1, 0
	s_mov_b32 s7, 0
	s_waitcnt lgkmcnt(0)
	s_lshl_b64 s[2:3], s[2:3], 3
	s_add_u32 s10, s12, s2
	s_addc_u32 s11, s13, s3
	s_lshl_b64 s[2:3], s[6:7], 3
	s_add_u32 s2, s10, s2
	s_addc_u32 s3, s11, s3
	s_load_dwordx2 s[10:11], s[2:3], 0x0
	s_and_b64 vcc, exec, s[4:5]
	s_cbranch_vccz .LBB52_19
; %bb.4:
	s_waitcnt lgkmcnt(0)
	s_lshl_b64 s[2:3], s[10:11], 3
	s_add_u32 s2, s14, s2
	s_addc_u32 s3, s15, s3
	s_load_dwordx4 s[4:7], s[2:3], 0x0
	v_lshrrev_b32_e32 v1, 4, v0
	v_subrev_co_u32_e32 v1, vcc, s24, v1
	s_waitcnt lgkmcnt(0)
	s_sub_u32 s2, s6, s24
	s_subb_u32 s3, s7, 0
	v_subb_co_u32_e64 v2, s[6:7], 0, 0, vcc
	v_mov_b32_e32 v3, s5
	v_add_co_u32_e32 v1, vcc, s4, v1
	v_addc_co_u32_e32 v2, vcc, v3, v2, vcc
	v_cmp_gt_i64_e32 vcc, s[2:3], v[1:2]
	s_and_saveexec_b64 s[4:5], vcc
	s_cbranch_execz .LBB52_18
; %bb.5:
	v_and_b32_e32 v3, 15, v0
	v_subrev_co_u32_e32 v12, vcc, s25, v3
	v_subb_co_u32_e64 v13, s[6:7], 0, 0, vcc
	s_mov_b32 s46, s25
	s_mov_b64 s[6:7], 0
	v_mov_b32_e32 v14, s17
	v_mov_b32_e32 v15, s19
	s_movk_i32 s17, 0x89
	s_branch .LBB52_7
.LBB52_6:                               ;   in Loop: Header=BB52_7 Depth=1
	s_or_b64 exec, exec, s[12:13]
	v_add_co_u32_e32 v1, vcc, 8, v1
	v_addc_co_u32_e32 v2, vcc, 0, v2, vcc
	v_cmp_le_i64_e32 vcc, s[2:3], v[1:2]
	s_or_b64 s[6:7], vcc, s[6:7]
	s_andn2_b64 exec, exec, s[6:7]
	s_cbranch_execz .LBB52_18
.LBB52_7:                               ; =>This Loop Header: Depth=1
                                        ;     Child Loop BB52_10 Depth 2
                                        ;       Child Loop BB52_13 Depth 3
	v_lshlrev_b64 v[3:4], 3, v[1:2]
	v_add_co_u32_e32 v3, vcc, s16, v3
	v_addc_co_u32_e32 v4, vcc, v14, v4, vcc
	global_load_dwordx2 v[3:4], v[3:4], off
	s_waitcnt vmcnt(0)
	v_subrev_co_u32_e32 v3, vcc, s24, v3
	v_subbrev_co_u32_e32 v4, vcc, 0, v4, vcc
	v_lshlrev_b64 v[3:4], 3, v[3:4]
	v_add_co_u32_e32 v3, vcc, s18, v3
	v_addc_co_u32_e32 v4, vcc, v15, v4, vcc
	global_load_dwordx4 v[5:8], v[3:4], off
	s_waitcnt vmcnt(0)
	v_subrev_co_u32_e32 v3, vcc, s46, v7
	v_subbrev_co_u32_e32 v4, vcc, 0, v8, vcc
	v_add_co_u32_e32 v5, vcc, v5, v12
	v_addc_co_u32_e32 v6, vcc, v6, v13, vcc
	v_cmp_lt_i64_e32 vcc, v[5:6], v[3:4]
	s_and_saveexec_b64 s[12:13], vcc
	s_cbranch_execz .LBB52_6
; %bb.8:                                ;   in Loop: Header=BB52_7 Depth=1
	s_mov_b64 s[14:15], 0
	s_branch .LBB52_10
.LBB52_9:                               ;   in Loop: Header=BB52_10 Depth=2
	s_or_b64 exec, exec, s[36:37]
	v_add_co_u32_e32 v5, vcc, 16, v5
	v_addc_co_u32_e32 v6, vcc, 0, v6, vcc
	v_cmp_ge_i64_e32 vcc, v[5:6], v[3:4]
	s_or_b64 s[14:15], vcc, s[14:15]
	s_andn2_b64 exec, exec, s[14:15]
	s_cbranch_execz .LBB52_6
.LBB52_10:                              ;   Parent Loop BB52_7 Depth=1
                                        ; =>  This Loop Header: Depth=2
                                        ;       Child Loop BB52_13 Depth 3
	v_lshlrev_b64 v[7:8], 3, v[5:6]
	v_mov_b32_e32 v9, s21
	v_add_co_u32_e32 v7, vcc, s20, v7
	v_addc_co_u32_e32 v8, vcc, v9, v8, vcc
	global_load_dwordx2 v[7:8], v[7:8], off
	s_mov_b64 s[36:37], 0
                                        ; implicit-def: $sgpr38_sgpr39
	s_waitcnt vmcnt(0)
	v_subrev_co_u32_e32 v7, vcc, s46, v7
	v_mul_lo_u32 v9, v7, s17
	v_subbrev_co_u32_e32 v8, vcc, 0, v8, vcc
	v_and_b32_e32 v16, 0xff, v9
	s_branch .LBB52_13
.LBB52_11:                              ;   in Loop: Header=BB52_13 Depth=3
	s_or_b64 exec, exec, s[42:43]
	s_andn2_b64 s[38:39], s[38:39], exec
	s_and_b64 s[42:43], s[44:45], exec
	s_or_b64 s[38:39], s[38:39], s[42:43]
.LBB52_12:                              ;   in Loop: Header=BB52_13 Depth=3
	s_or_b64 exec, exec, s[40:41]
	s_xor_b64 s[40:41], s[38:39], -1
	s_and_b64 s[40:41], exec, s[40:41]
	s_or_b64 s[36:37], s[40:41], s[36:37]
	s_andn2_b64 exec, exec, s[36:37]
	s_cbranch_execz .LBB52_9
.LBB52_13:                              ;   Parent Loop BB52_7 Depth=1
                                        ;     Parent Loop BB52_10 Depth=2
                                        ; =>    This Inner Loop Header: Depth=3
	v_lshl_add_u32 v17, v16, 3, 0
	ds_read_b64 v[9:10], v17
	s_andn2_b64 s[38:39], s[38:39], exec
	s_waitcnt lgkmcnt(0)
	v_cmp_ne_u64_e32 vcc, v[9:10], v[7:8]
	s_and_saveexec_b64 s[40:41], vcc
	s_cbranch_execz .LBB52_12
; %bb.14:                               ;   in Loop: Header=BB52_13 Depth=3
	v_cmp_ne_u64_e32 vcc, s[8:9], v[9:10]
	s_and_saveexec_b64 s[42:43], vcc
	s_xor_b64 s[42:43], exec, s[42:43]
; %bb.15:                               ;   in Loop: Header=BB52_13 Depth=3
	v_add_u32_e32 v9, 1, v16
	v_and_b32_e32 v16, 0xff, v9
                                        ; implicit-def: $vgpr17
; %bb.16:                               ;   in Loop: Header=BB52_13 Depth=3
	s_or_saveexec_b64 s[42:43], s[42:43]
	s_mov_b64 s[44:45], -1
	s_xor_b64 exec, exec, s[42:43]
	s_cbranch_execz .LBB52_11
; %bb.17:                               ;   in Loop: Header=BB52_13 Depth=3
	v_mov_b32_e32 v10, s9
	v_mov_b32_e32 v9, s8
	ds_cmpst_rtn_b64 v[9:10], v17, v[9:10], v[7:8]
	s_waitcnt lgkmcnt(0)
	v_cmp_ne_u64_e32 vcc, s[8:9], v[9:10]
	s_orn2_b64 s[44:45], vcc, exec
	s_branch .LBB52_11
.LBB52_18:
	s_or_b64 exec, exec, s[4:5]
.LBB52_19:
	s_bfe_u32 s2, s33, 0x10008
	s_cmp_eq_u32 s2, 0
	s_cbranch_scc1 .LBB52_32
; %bb.20:
	s_waitcnt lgkmcnt(0)
	s_lshl_b64 s[2:3], s[10:11], 3
	s_add_u32 s2, s22, s2
	s_addc_u32 s3, s23, s3
	s_load_dwordx4 s[4:7], s[2:3], 0x0
	v_subrev_co_u32_e32 v1, vcc, s27, v0
	v_subb_co_u32_e64 v2, s[2:3], 0, 0, vcc
	s_waitcnt lgkmcnt(0)
	s_sub_u32 s2, s6, s27
	v_mov_b32_e32 v3, s5
	v_add_co_u32_e32 v1, vcc, s4, v1
	s_subb_u32 s3, s7, 0
	v_addc_co_u32_e32 v2, vcc, v3, v2, vcc
	v_cmp_gt_i64_e32 vcc, s[2:3], v[1:2]
	s_and_saveexec_b64 s[4:5], vcc
	s_cbranch_execz .LBB52_31
; %bb.21:
	s_mov_b32 s22, s27
	s_mov_b64 s[6:7], 0
	v_mov_b32_e32 v7, s29
	s_movk_i32 s23, 0x89
	s_branch .LBB52_23
.LBB52_22:                              ;   in Loop: Header=BB52_23 Depth=1
	s_or_b64 exec, exec, s[12:13]
	v_add_co_u32_e32 v1, vcc, 0x80, v1
	v_addc_co_u32_e32 v2, vcc, 0, v2, vcc
	v_cmp_le_i64_e32 vcc, s[2:3], v[1:2]
	s_or_b64 s[6:7], vcc, s[6:7]
	s_andn2_b64 exec, exec, s[6:7]
	s_cbranch_execz .LBB52_31
.LBB52_23:                              ; =>This Loop Header: Depth=1
                                        ;     Child Loop BB52_26 Depth 2
	v_lshlrev_b64 v[3:4], 3, v[1:2]
	s_mov_b64 s[12:13], 0
	v_add_co_u32_e32 v3, vcc, s28, v3
	v_addc_co_u32_e32 v4, vcc, v7, v4, vcc
	global_load_dwordx2 v[3:4], v[3:4], off
                                        ; implicit-def: $sgpr14_sgpr15
	s_waitcnt vmcnt(0)
	v_subrev_co_u32_e32 v3, vcc, s22, v3
	v_mul_lo_u32 v5, v3, s23
	v_subbrev_co_u32_e32 v4, vcc, 0, v4, vcc
	v_and_b32_e32 v8, 0xff, v5
	s_branch .LBB52_26
.LBB52_24:                              ;   in Loop: Header=BB52_26 Depth=2
	s_or_b64 exec, exec, s[18:19]
	s_andn2_b64 s[14:15], s[14:15], exec
	s_and_b64 s[18:19], s[20:21], exec
	s_or_b64 s[14:15], s[14:15], s[18:19]
.LBB52_25:                              ;   in Loop: Header=BB52_26 Depth=2
	s_or_b64 exec, exec, s[16:17]
	s_xor_b64 s[16:17], s[14:15], -1
	s_and_b64 s[16:17], exec, s[16:17]
	s_or_b64 s[12:13], s[16:17], s[12:13]
	s_andn2_b64 exec, exec, s[12:13]
	s_cbranch_execz .LBB52_22
.LBB52_26:                              ;   Parent Loop BB52_23 Depth=1
                                        ; =>  This Inner Loop Header: Depth=2
	v_lshl_add_u32 v9, v8, 3, 0
	ds_read_b64 v[5:6], v9
	s_andn2_b64 s[14:15], s[14:15], exec
	s_waitcnt lgkmcnt(0)
	v_cmp_ne_u64_e32 vcc, v[5:6], v[3:4]
	s_and_saveexec_b64 s[16:17], vcc
	s_cbranch_execz .LBB52_25
; %bb.27:                               ;   in Loop: Header=BB52_26 Depth=2
	v_cmp_ne_u64_e32 vcc, s[8:9], v[5:6]
	s_and_saveexec_b64 s[18:19], vcc
	s_xor_b64 s[18:19], exec, s[18:19]
; %bb.28:                               ;   in Loop: Header=BB52_26 Depth=2
	v_add_u32_e32 v5, 1, v8
	v_and_b32_e32 v8, 0xff, v5
                                        ; implicit-def: $vgpr9
; %bb.29:                               ;   in Loop: Header=BB52_26 Depth=2
	s_or_saveexec_b64 s[18:19], s[18:19]
	s_mov_b64 s[20:21], -1
	s_xor_b64 exec, exec, s[18:19]
	s_cbranch_execz .LBB52_24
; %bb.30:                               ;   in Loop: Header=BB52_26 Depth=2
	v_mov_b32_e32 v5, s8
	v_mov_b32_e32 v6, s9
	ds_cmpst_rtn_b64 v[5:6], v9, v[5:6], v[3:4]
	s_waitcnt lgkmcnt(0)
	v_cmp_ne_u64_e32 vcc, s[8:9], v[5:6]
	s_orn2_b64 s[20:21], vcc, exec
	s_branch .LBB52_24
.LBB52_31:
	s_or_b64 exec, exec, s[4:5]
.LBB52_32:
	s_waitcnt lgkmcnt(0)
	s_barrier
	s_and_saveexec_b64 s[12:13], s[0:1]
	s_cbranch_execz .LBB52_45
; %bb.33:
	v_mbcnt_lo_u32_b32 v1, -1, 0
	v_mbcnt_hi_u32_b32 v1, -1, v1
	v_sub_u32_e32 v1, 63, v1
	v_lshrrev_b64 v[3:4], v1, -1
	v_lshrrev_b32_e32 v1, 2, v0
	v_and_b32_e32 v1, 24, v1
	s_movk_i32 s0, 0x7f
	s_movk_i32 s6, 0x5f
	v_mov_b32_e32 v5, 0
	v_mov_b32_e32 v2, 0
	v_add_u32_e32 v12, 0, v1
	v_cmp_eq_u32_e64 s[0:1], s0, v0
	v_cmp_lt_u32_e64 s[2:3], 31, v0
	v_cmp_lt_u32_e64 s[4:5], 63, v0
	;; [unrolled: 1-line block ×3, first 2 shown]
	v_or_b32_e32 v13, 0xffffff80, v0
	v_mov_b32_e32 v6, 0
	s_mov_b64 s[14:15], 0
	s_branch .LBB52_35
.LBB52_34:                              ;   in Loop: Header=BB52_35 Depth=1
	s_or_b64 exec, exec, s[16:17]
	s_waitcnt lgkmcnt(0)
	s_barrier
	ds_read_b64 v[7:8], v2 offset:2072
	v_add_u32_e32 v11, 0x400, v11
	s_waitcnt lgkmcnt(0)
	v_add_co_u32_e32 v5, vcc, v7, v5
	v_addc_co_u32_e32 v6, vcc, v8, v6, vcc
	v_add_co_u32_e32 v13, vcc, 0x80, v13
	s_xor_b64 s[16:17], vcc, -1
	s_and_b64 s[16:17], exec, s[16:17]
	s_or_b64 s[14:15], s[16:17], s[14:15]
	s_andn2_b64 exec, exec, s[14:15]
	s_cbranch_execz .LBB52_45
.LBB52_35:                              ; =>This Inner Loop Header: Depth=1
	ds_read_b64 v[7:8], v11
	s_waitcnt lgkmcnt(0)
	s_barrier
	v_cmp_gt_i64_e32 vcc, s[8:9], v[7:8]
	v_and_b32_e32 v10, vcc_lo, v3
	s_bcnt1_i32_b64 s16, vcc
	v_and_b32_e32 v9, vcc_hi, v4
	v_bcnt_u32_b32 v10, v10, 0
	v_mov_b32_e32 v1, s16
	v_bcnt_u32_b32 v9, v9, v10
	ds_write_b64 v12, v[1:2] offset:2048
	s_waitcnt lgkmcnt(0)
	s_barrier
	s_and_saveexec_b64 s[16:17], s[2:3]
	s_cbranch_execnz .LBB52_40
; %bb.36:                               ;   in Loop: Header=BB52_35 Depth=1
	s_or_b64 exec, exec, s[16:17]
	s_and_saveexec_b64 s[16:17], s[4:5]
	s_cbranch_execnz .LBB52_41
.LBB52_37:                              ;   in Loop: Header=BB52_35 Depth=1
	s_or_b64 exec, exec, s[16:17]
	s_and_saveexec_b64 s[16:17], s[6:7]
	s_cbranch_execnz .LBB52_42
.LBB52_38:                              ;   in Loop: Header=BB52_35 Depth=1
	s_or_b64 exec, exec, s[16:17]
	v_ashrrev_i32_e32 v10, 31, v9
	s_and_saveexec_b64 s[16:17], vcc
	s_cbranch_execnz .LBB52_43
.LBB52_39:                              ;   in Loop: Header=BB52_35 Depth=1
	s_or_b64 exec, exec, s[16:17]
	s_and_saveexec_b64 s[16:17], s[0:1]
	s_cbranch_execz .LBB52_34
	s_branch .LBB52_44
.LBB52_40:                              ;   in Loop: Header=BB52_35 Depth=1
	ds_read_b32 v1, v2 offset:2048
	s_waitcnt lgkmcnt(0)
	v_add_u32_e32 v9, v1, v9
	s_or_b64 exec, exec, s[16:17]
	s_and_saveexec_b64 s[16:17], s[4:5]
	s_cbranch_execz .LBB52_37
.LBB52_41:                              ;   in Loop: Header=BB52_35 Depth=1
	ds_read_b32 v1, v2 offset:2056
	s_waitcnt lgkmcnt(0)
	v_add_u32_e32 v9, v9, v1
	s_or_b64 exec, exec, s[16:17]
	s_and_saveexec_b64 s[16:17], s[6:7]
	s_cbranch_execz .LBB52_38
.LBB52_42:                              ;   in Loop: Header=BB52_35 Depth=1
	ds_read_b32 v1, v2 offset:2064
	s_waitcnt lgkmcnt(0)
	v_add_u32_e32 v9, v9, v1
	s_or_b64 exec, exec, s[16:17]
	v_ashrrev_i32_e32 v10, 31, v9
	s_and_saveexec_b64 s[16:17], vcc
	s_cbranch_execz .LBB52_39
.LBB52_43:                              ;   in Loop: Header=BB52_35 Depth=1
	v_lshlrev_b32_e32 v1, 3, v5
	v_add_u32_e32 v1, 0, v1
	v_lshlrev_b32_e32 v14, 3, v9
	v_add3_u32 v1, v1, v14, -8
	ds_write_b64 v1, v[7:8]
	s_or_b64 exec, exec, s[16:17]
	s_and_saveexec_b64 s[16:17], s[0:1]
	s_cbranch_execz .LBB52_34
.LBB52_44:                              ;   in Loop: Header=BB52_35 Depth=1
	ds_write_b64 v2, v[9:10] offset:2072
	s_branch .LBB52_34
.LBB52_45:
	s_or_b64 exec, exec, s[12:13]
	s_lshl_b64 s[0:1], s[10:11], 3
	s_add_u32 s4, s30, s0
	s_addc_u32 s5, s31, s1
	s_load_dwordx4 s[0:3], s[4:5], 0x0
	v_mov_b32_e32 v1, 0
	s_waitcnt lgkmcnt(0)
	s_sub_u32 s4, s2, s0
	s_subb_u32 s5, s3, s1
	v_cmp_gt_i64_e32 vcc, s[4:5], v[0:1]
	s_and_saveexec_b64 s[6:7], vcc
	s_cbranch_execz .LBB52_55
; %bb.46:
	s_sub_u32 s8, s0, s26
	s_subb_u32 s9, s1, 0
	s_and_b32 s6, s4, 7
	s_sub_u32 s0, s0, s2
	s_subb_u32 s1, s1, s3
	v_cmp_lt_u64_e64 s[0:1], s[0:1], -7
	s_mov_b32 s7, 0
	s_and_b32 s10, s4, -8
	s_cmp_lg_u64 s[6:7], 0
	v_cndmask_b32_e64 v2, 0, 1, s[0:1]
	s_mov_b32 s11, s5
	s_mov_b64 s[12:13], 0
	s_cselect_b64 s[14:15], -1, 0
	v_cmp_ne_u32_e64 s[0:1], 1, v2
	s_branch .LBB52_48
.LBB52_47:                              ;   in Loop: Header=BB52_48 Depth=1
	s_waitcnt lgkmcnt(0)
	v_add_co_u32_e32 v2, vcc, s26, v2
	v_addc_co_u32_e32 v3, vcc, 0, v3, vcc
	v_add_co_u32_e32 v0, vcc, 0x80, v0
	v_lshlrev_b64 v[4:5], 3, v[4:5]
	v_addc_co_u32_e32 v1, vcc, 0, v1, vcc
	v_cmp_le_i64_e32 vcc, s[4:5], v[0:1]
	v_mov_b32_e32 v6, s35
	v_add_co_u32_e64 v4, s[2:3], s34, v4
	v_addc_co_u32_e64 v5, s[2:3], v6, v5, s[2:3]
	s_or_b64 s[12:13], vcc, s[12:13]
	global_store_dwordx2 v[4:5], v[2:3], off
	s_andn2_b64 exec, exec, s[12:13]
	s_cbranch_execz .LBB52_55
.LBB52_48:                              ; =>This Loop Header: Depth=1
                                        ;     Child Loop BB52_50 Depth 2
                                        ;     Child Loop BB52_54 Depth 2
	v_lshl_add_u32 v2, v0, 3, 0
	ds_read_b64 v[2:3], v2
	v_mov_b32_e32 v4, s8
	s_and_b64 vcc, exec, s[0:1]
	v_mov_b32_e32 v5, s9
	s_mov_b64 s[2:3], 0
	s_cbranch_vccnz .LBB52_52
; %bb.49:                               ;   in Loop: Header=BB52_48 Depth=1
	v_mov_b32_e32 v4, s8
	s_mov_b64 s[16:17], 0
	s_mov_b32 s18, 0
	v_mov_b32_e32 v5, s9
.LBB52_50:                              ;   Parent Loop BB52_48 Depth=1
                                        ; =>  This Inner Loop Header: Depth=2
	v_mov_b32_e32 v18, s18
	ds_read2_b64 v[6:9], v18 offset1:1
	ds_read2_b64 v[10:13], v18 offset0:2 offset1:3
	ds_read2_b64 v[14:17], v18 offset0:4 offset1:5
	;; [unrolled: 1-line block ×3, first 2 shown]
	s_add_u32 s16, s16, 8
	s_waitcnt lgkmcnt(3)
	v_cmp_gt_i64_e32 vcc, v[2:3], v[8:9]
	v_cmp_gt_i64_e64 s[2:3], v[2:3], v[6:7]
	v_cndmask_b32_e64 v7, 0, 1, vcc
	s_waitcnt lgkmcnt(2)
	v_cmp_gt_i64_e32 vcc, v[2:3], v[10:11]
	v_cndmask_b32_e64 v6, 0, 1, s[2:3]
	v_cndmask_b32_e64 v8, 0, 1, vcc
	v_cmp_gt_i64_e32 vcc, v[2:3], v[12:13]
	s_addc_u32 s17, s17, 0
	v_cndmask_b32_e64 v9, 0, 1, vcc
	s_waitcnt lgkmcnt(1)
	v_cmp_gt_i64_e32 vcc, v[2:3], v[14:15]
	s_add_i32 s18, s18, 64
	v_cndmask_b32_e64 v10, 0, 1, vcc
	v_cmp_gt_i64_e32 vcc, v[2:3], v[16:17]
	s_cmp_eq_u64 s[10:11], s[16:17]
	v_cndmask_b32_e64 v11, 0, 1, vcc
	s_waitcnt lgkmcnt(0)
	v_cmp_gt_i64_e32 vcc, v[2:3], v[18:19]
	v_cndmask_b32_e64 v12, 0, 1, vcc
	v_cmp_gt_i64_e32 vcc, v[2:3], v[20:21]
	v_cndmask_b32_e64 v13, 0, 1, vcc
	v_add_co_u32_e32 v4, vcc, v4, v6
	v_addc_co_u32_e32 v5, vcc, 0, v5, vcc
	v_add_co_u32_e32 v4, vcc, v4, v7
	v_addc_co_u32_e32 v5, vcc, 0, v5, vcc
	;; [unrolled: 2-line block ×8, first 2 shown]
	s_cbranch_scc0 .LBB52_50
; %bb.51:                               ;   in Loop: Header=BB52_48 Depth=1
	s_mov_b64 s[2:3], s[10:11]
.LBB52_52:                              ;   in Loop: Header=BB52_48 Depth=1
	s_andn2_b64 vcc, exec, s[14:15]
	s_cbranch_vccnz .LBB52_47
; %bb.53:                               ;   in Loop: Header=BB52_48 Depth=1
	s_lshl_b32 s2, s2, 3
	s_add_i32 s16, s2, 0
	s_mov_b64 s[2:3], s[6:7]
.LBB52_54:                              ;   Parent Loop BB52_48 Depth=1
                                        ; =>  This Inner Loop Header: Depth=2
	v_mov_b32_e32 v6, s16
	ds_read_b64 v[6:7], v6
	s_add_i32 s16, s16, 8
	s_add_u32 s2, s2, -1
	s_addc_u32 s3, s3, -1
	s_cmp_lg_u64 s[2:3], 0
	s_waitcnt lgkmcnt(0)
	v_cmp_gt_i64_e32 vcc, v[2:3], v[6:7]
	v_cndmask_b32_e64 v6, 0, 1, vcc
	v_add_co_u32_e32 v4, vcc, v4, v6
	v_addc_co_u32_e32 v5, vcc, 0, v5, vcc
	s_cbranch_scc1 .LBB52_54
	s_branch .LBB52_47
.LBB52_55:
	s_endpgm
	.section	.rodata,"a",@progbits
	.p2align	6, 0x0
	.amdhsa_kernel _ZN9rocsparseL35csrgemm_symbolic_fill_block_per_rowILj128ELj16ELj256ELj137ELj32EllEEvT5_PKS1_S3_PKT4_S3_S6_S3_S6_S3_S6_PS1_21rocsparse_index_base_S8_S8_S8_bb
		.amdhsa_group_segment_fixed_size 0
		.amdhsa_private_segment_fixed_size 0
		.amdhsa_kernarg_size 108
		.amdhsa_user_sgpr_count 6
		.amdhsa_user_sgpr_private_segment_buffer 1
		.amdhsa_user_sgpr_dispatch_ptr 0
		.amdhsa_user_sgpr_queue_ptr 0
		.amdhsa_user_sgpr_kernarg_segment_ptr 1
		.amdhsa_user_sgpr_dispatch_id 0
		.amdhsa_user_sgpr_flat_scratch_init 0
		.amdhsa_user_sgpr_private_segment_size 0
		.amdhsa_uses_dynamic_stack 0
		.amdhsa_system_sgpr_private_segment_wavefront_offset 0
		.amdhsa_system_sgpr_workgroup_id_x 1
		.amdhsa_system_sgpr_workgroup_id_y 0
		.amdhsa_system_sgpr_workgroup_id_z 0
		.amdhsa_system_sgpr_workgroup_info 0
		.amdhsa_system_vgpr_workitem_id 0
		.amdhsa_next_free_vgpr 22
		.amdhsa_next_free_sgpr 47
		.amdhsa_reserve_vcc 1
		.amdhsa_reserve_flat_scratch 0
		.amdhsa_float_round_mode_32 0
		.amdhsa_float_round_mode_16_64 0
		.amdhsa_float_denorm_mode_32 3
		.amdhsa_float_denorm_mode_16_64 3
		.amdhsa_dx10_clamp 1
		.amdhsa_ieee_mode 1
		.amdhsa_fp16_overflow 0
		.amdhsa_exception_fp_ieee_invalid_op 0
		.amdhsa_exception_fp_denorm_src 0
		.amdhsa_exception_fp_ieee_div_zero 0
		.amdhsa_exception_fp_ieee_overflow 0
		.amdhsa_exception_fp_ieee_underflow 0
		.amdhsa_exception_fp_ieee_inexact 0
		.amdhsa_exception_int_div_zero 0
	.end_amdhsa_kernel
	.section	.text._ZN9rocsparseL35csrgemm_symbolic_fill_block_per_rowILj128ELj16ELj256ELj137ELj32EllEEvT5_PKS1_S3_PKT4_S3_S6_S3_S6_S3_S6_PS1_21rocsparse_index_base_S8_S8_S8_bb,"axG",@progbits,_ZN9rocsparseL35csrgemm_symbolic_fill_block_per_rowILj128ELj16ELj256ELj137ELj32EllEEvT5_PKS1_S3_PKT4_S3_S6_S3_S6_S3_S6_PS1_21rocsparse_index_base_S8_S8_S8_bb,comdat
.Lfunc_end52:
	.size	_ZN9rocsparseL35csrgemm_symbolic_fill_block_per_rowILj128ELj16ELj256ELj137ELj32EllEEvT5_PKS1_S3_PKT4_S3_S6_S3_S6_S3_S6_PS1_21rocsparse_index_base_S8_S8_S8_bb, .Lfunc_end52-_ZN9rocsparseL35csrgemm_symbolic_fill_block_per_rowILj128ELj16ELj256ELj137ELj32EllEEvT5_PKS1_S3_PKT4_S3_S6_S3_S6_S3_S6_PS1_21rocsparse_index_base_S8_S8_S8_bb
                                        ; -- End function
	.set _ZN9rocsparseL35csrgemm_symbolic_fill_block_per_rowILj128ELj16ELj256ELj137ELj32EllEEvT5_PKS1_S3_PKT4_S3_S6_S3_S6_S3_S6_PS1_21rocsparse_index_base_S8_S8_S8_bb.num_vgpr, 22
	.set _ZN9rocsparseL35csrgemm_symbolic_fill_block_per_rowILj128ELj16ELj256ELj137ELj32EllEEvT5_PKS1_S3_PKT4_S3_S6_S3_S6_S3_S6_PS1_21rocsparse_index_base_S8_S8_S8_bb.num_agpr, 0
	.set _ZN9rocsparseL35csrgemm_symbolic_fill_block_per_rowILj128ELj16ELj256ELj137ELj32EllEEvT5_PKS1_S3_PKT4_S3_S6_S3_S6_S3_S6_PS1_21rocsparse_index_base_S8_S8_S8_bb.numbered_sgpr, 47
	.set _ZN9rocsparseL35csrgemm_symbolic_fill_block_per_rowILj128ELj16ELj256ELj137ELj32EllEEvT5_PKS1_S3_PKT4_S3_S6_S3_S6_S3_S6_PS1_21rocsparse_index_base_S8_S8_S8_bb.num_named_barrier, 0
	.set _ZN9rocsparseL35csrgemm_symbolic_fill_block_per_rowILj128ELj16ELj256ELj137ELj32EllEEvT5_PKS1_S3_PKT4_S3_S6_S3_S6_S3_S6_PS1_21rocsparse_index_base_S8_S8_S8_bb.private_seg_size, 0
	.set _ZN9rocsparseL35csrgemm_symbolic_fill_block_per_rowILj128ELj16ELj256ELj137ELj32EllEEvT5_PKS1_S3_PKT4_S3_S6_S3_S6_S3_S6_PS1_21rocsparse_index_base_S8_S8_S8_bb.uses_vcc, 1
	.set _ZN9rocsparseL35csrgemm_symbolic_fill_block_per_rowILj128ELj16ELj256ELj137ELj32EllEEvT5_PKS1_S3_PKT4_S3_S6_S3_S6_S3_S6_PS1_21rocsparse_index_base_S8_S8_S8_bb.uses_flat_scratch, 0
	.set _ZN9rocsparseL35csrgemm_symbolic_fill_block_per_rowILj128ELj16ELj256ELj137ELj32EllEEvT5_PKS1_S3_PKT4_S3_S6_S3_S6_S3_S6_PS1_21rocsparse_index_base_S8_S8_S8_bb.has_dyn_sized_stack, 0
	.set _ZN9rocsparseL35csrgemm_symbolic_fill_block_per_rowILj128ELj16ELj256ELj137ELj32EllEEvT5_PKS1_S3_PKT4_S3_S6_S3_S6_S3_S6_PS1_21rocsparse_index_base_S8_S8_S8_bb.has_recursion, 0
	.set _ZN9rocsparseL35csrgemm_symbolic_fill_block_per_rowILj128ELj16ELj256ELj137ELj32EllEEvT5_PKS1_S3_PKT4_S3_S6_S3_S6_S3_S6_PS1_21rocsparse_index_base_S8_S8_S8_bb.has_indirect_call, 0
	.section	.AMDGPU.csdata,"",@progbits
; Kernel info:
; codeLenInByte = 2108
; TotalNumSgprs: 51
; NumVgprs: 22
; ScratchSize: 0
; MemoryBound: 0
; FloatMode: 240
; IeeeMode: 1
; LDSByteSize: 0 bytes/workgroup (compile time only)
; SGPRBlocks: 6
; VGPRBlocks: 5
; NumSGPRsForWavesPerEU: 51
; NumVGPRsForWavesPerEU: 22
; Occupancy: 10
; WaveLimiterHint : 1
; COMPUTE_PGM_RSRC2:SCRATCH_EN: 0
; COMPUTE_PGM_RSRC2:USER_SGPR: 6
; COMPUTE_PGM_RSRC2:TRAP_HANDLER: 0
; COMPUTE_PGM_RSRC2:TGID_X_EN: 1
; COMPUTE_PGM_RSRC2:TGID_Y_EN: 0
; COMPUTE_PGM_RSRC2:TGID_Z_EN: 0
; COMPUTE_PGM_RSRC2:TIDIG_COMP_CNT: 0
	.section	.text._ZN9rocsparseL35csrgemm_symbolic_fill_block_per_rowILj128ELj16ELj256ELj137ELj64EllEEvT5_PKS1_S3_PKT4_S3_S6_S3_S6_S3_S6_PS1_21rocsparse_index_base_S8_S8_S8_bb,"axG",@progbits,_ZN9rocsparseL35csrgemm_symbolic_fill_block_per_rowILj128ELj16ELj256ELj137ELj64EllEEvT5_PKS1_S3_PKT4_S3_S6_S3_S6_S3_S6_PS1_21rocsparse_index_base_S8_S8_S8_bb,comdat
	.globl	_ZN9rocsparseL35csrgemm_symbolic_fill_block_per_rowILj128ELj16ELj256ELj137ELj64EllEEvT5_PKS1_S3_PKT4_S3_S6_S3_S6_S3_S6_PS1_21rocsparse_index_base_S8_S8_S8_bb ; -- Begin function _ZN9rocsparseL35csrgemm_symbolic_fill_block_per_rowILj128ELj16ELj256ELj137ELj64EllEEvT5_PKS1_S3_PKT4_S3_S6_S3_S6_S3_S6_PS1_21rocsparse_index_base_S8_S8_S8_bb
	.p2align	8
	.type	_ZN9rocsparseL35csrgemm_symbolic_fill_block_per_rowILj128ELj16ELj256ELj137ELj64EllEEvT5_PKS1_S3_PKT4_S3_S6_S3_S6_S3_S6_PS1_21rocsparse_index_base_S8_S8_S8_bb,@function
_ZN9rocsparseL35csrgemm_symbolic_fill_block_per_rowILj128ELj16ELj256ELj137ELj64EllEEvT5_PKS1_S3_PKT4_S3_S6_S3_S6_S3_S6_PS1_21rocsparse_index_base_S8_S8_S8_bb: ; @_ZN9rocsparseL35csrgemm_symbolic_fill_block_per_rowILj128ELj16ELj256ELj137ELj64EllEEvT5_PKS1_S3_PKT4_S3_S6_S3_S6_S3_S6_PS1_21rocsparse_index_base_S8_S8_S8_bb
; %bb.0:
	s_load_dwordx2 s[34:35], s[4:5], 0x50
	s_load_dwordx4 s[28:31], s[4:5], 0x40
	s_load_dwordx8 s[8:15], s[4:5], 0x0
	s_load_dwordx8 s[16:23], s[4:5], 0x20
	s_movk_i32 s0, 0x100
	v_cmp_gt_u32_e64 s[0:1], s0, v0
	v_lshl_add_u32 v11, v0, 3, 0
	s_and_saveexec_b64 s[2:3], s[0:1]
	s_cbranch_execz .LBB53_3
; %bb.1:
	s_waitcnt lgkmcnt(0)
	v_mov_b32_e32 v1, s8
	v_or_b32_e32 v3, 0xffffff80, v0
	v_lshl_add_u32 v4, v0, 3, 0
	s_mov_b64 s[24:25], 0
	v_mov_b32_e32 v2, s9
.LBB53_2:                               ; =>This Inner Loop Header: Depth=1
	v_add_co_u32_e32 v3, vcc, 0x80, v3
	s_xor_b64 s[26:27], vcc, -1
	s_and_b64 s[26:27], exec, s[26:27]
	ds_write_b64 v4, v[1:2]
	s_or_b64 s[24:25], s[26:27], s[24:25]
	v_add_u32_e32 v4, 0x400, v4
	s_andn2_b64 exec, exec, s[24:25]
	s_cbranch_execnz .LBB53_2
.LBB53_3:
	s_or_b64 exec, exec, s[2:3]
	s_load_dword s33, s[4:5], 0x68
	s_waitcnt lgkmcnt(0)
	s_barrier
	s_load_dwordx2 s[2:3], s[10:11], 0x0
	s_load_dwordx4 s[24:27], s[4:5], 0x58
	s_bitcmp1_b32 s33, 0
	s_cselect_b64 s[10:11], -1, 0
	s_mov_b32 s7, 0
	s_waitcnt lgkmcnt(0)
	s_lshl_b64 s[2:3], s[2:3], 3
	s_add_u32 s4, s12, s2
	s_addc_u32 s5, s13, s3
	s_lshl_b64 s[2:3], s[6:7], 3
	s_add_u32 s2, s4, s2
	s_addc_u32 s3, s5, s3
	s_load_dwordx2 s[4:5], s[2:3], 0x0
	s_and_b64 vcc, exec, s[10:11]
	s_cbranch_vccz .LBB53_19
; %bb.4:
	s_waitcnt lgkmcnt(0)
	s_lshl_b64 s[2:3], s[4:5], 3
	s_add_u32 s2, s14, s2
	s_addc_u32 s3, s15, s3
	s_load_dwordx4 s[12:15], s[2:3], 0x0
	v_lshrrev_b32_e32 v1, 4, v0
	v_subrev_co_u32_e32 v1, vcc, s24, v1
	v_subb_co_u32_e64 v2, s[6:7], 0, 0, vcc
	s_waitcnt lgkmcnt(0)
	s_sub_u32 s2, s14, s24
	v_mov_b32_e32 v3, s13
	v_add_co_u32_e32 v1, vcc, s12, v1
	s_subb_u32 s3, s15, 0
	v_addc_co_u32_e32 v2, vcc, v3, v2, vcc
	v_cmp_gt_i64_e32 vcc, s[2:3], v[1:2]
	s_and_saveexec_b64 s[6:7], vcc
	s_cbranch_execz .LBB53_18
; %bb.5:
	v_and_b32_e32 v3, 15, v0
	v_subrev_co_u32_e32 v12, vcc, s25, v3
	v_subb_co_u32_e64 v13, s[10:11], 0, 0, vcc
	s_mov_b32 s46, s25
	s_mov_b64 s[10:11], 0
	v_mov_b32_e32 v14, s17
	v_mov_b32_e32 v15, s19
	s_movk_i32 s17, 0x89
	s_branch .LBB53_7
.LBB53_6:                               ;   in Loop: Header=BB53_7 Depth=1
	s_or_b64 exec, exec, s[12:13]
	v_add_co_u32_e32 v1, vcc, 8, v1
	v_addc_co_u32_e32 v2, vcc, 0, v2, vcc
	v_cmp_le_i64_e32 vcc, s[2:3], v[1:2]
	s_or_b64 s[10:11], vcc, s[10:11]
	s_andn2_b64 exec, exec, s[10:11]
	s_cbranch_execz .LBB53_18
.LBB53_7:                               ; =>This Loop Header: Depth=1
                                        ;     Child Loop BB53_10 Depth 2
                                        ;       Child Loop BB53_13 Depth 3
	v_lshlrev_b64 v[3:4], 3, v[1:2]
	v_add_co_u32_e32 v3, vcc, s16, v3
	v_addc_co_u32_e32 v4, vcc, v14, v4, vcc
	global_load_dwordx2 v[3:4], v[3:4], off
	s_waitcnt vmcnt(0)
	v_subrev_co_u32_e32 v3, vcc, s24, v3
	v_subbrev_co_u32_e32 v4, vcc, 0, v4, vcc
	v_lshlrev_b64 v[3:4], 3, v[3:4]
	v_add_co_u32_e32 v3, vcc, s18, v3
	v_addc_co_u32_e32 v4, vcc, v15, v4, vcc
	global_load_dwordx4 v[5:8], v[3:4], off
	s_waitcnt vmcnt(0)
	v_subrev_co_u32_e32 v3, vcc, s46, v7
	v_subbrev_co_u32_e32 v4, vcc, 0, v8, vcc
	v_add_co_u32_e32 v5, vcc, v5, v12
	v_addc_co_u32_e32 v6, vcc, v6, v13, vcc
	v_cmp_lt_i64_e32 vcc, v[5:6], v[3:4]
	s_and_saveexec_b64 s[12:13], vcc
	s_cbranch_execz .LBB53_6
; %bb.8:                                ;   in Loop: Header=BB53_7 Depth=1
	s_mov_b64 s[14:15], 0
	s_branch .LBB53_10
.LBB53_9:                               ;   in Loop: Header=BB53_10 Depth=2
	s_or_b64 exec, exec, s[36:37]
	v_add_co_u32_e32 v5, vcc, 16, v5
	v_addc_co_u32_e32 v6, vcc, 0, v6, vcc
	v_cmp_ge_i64_e32 vcc, v[5:6], v[3:4]
	s_or_b64 s[14:15], vcc, s[14:15]
	s_andn2_b64 exec, exec, s[14:15]
	s_cbranch_execz .LBB53_6
.LBB53_10:                              ;   Parent Loop BB53_7 Depth=1
                                        ; =>  This Loop Header: Depth=2
                                        ;       Child Loop BB53_13 Depth 3
	v_lshlrev_b64 v[7:8], 3, v[5:6]
	v_mov_b32_e32 v9, s21
	v_add_co_u32_e32 v7, vcc, s20, v7
	v_addc_co_u32_e32 v8, vcc, v9, v8, vcc
	global_load_dwordx2 v[7:8], v[7:8], off
	s_mov_b64 s[36:37], 0
                                        ; implicit-def: $sgpr38_sgpr39
	s_waitcnt vmcnt(0)
	v_subrev_co_u32_e32 v7, vcc, s46, v7
	v_mul_lo_u32 v9, v7, s17
	v_subbrev_co_u32_e32 v8, vcc, 0, v8, vcc
	v_and_b32_e32 v16, 0xff, v9
	s_branch .LBB53_13
.LBB53_11:                              ;   in Loop: Header=BB53_13 Depth=3
	s_or_b64 exec, exec, s[42:43]
	s_andn2_b64 s[38:39], s[38:39], exec
	s_and_b64 s[42:43], s[44:45], exec
	s_or_b64 s[38:39], s[38:39], s[42:43]
.LBB53_12:                              ;   in Loop: Header=BB53_13 Depth=3
	s_or_b64 exec, exec, s[40:41]
	s_xor_b64 s[40:41], s[38:39], -1
	s_and_b64 s[40:41], exec, s[40:41]
	s_or_b64 s[36:37], s[40:41], s[36:37]
	s_andn2_b64 exec, exec, s[36:37]
	s_cbranch_execz .LBB53_9
.LBB53_13:                              ;   Parent Loop BB53_7 Depth=1
                                        ;     Parent Loop BB53_10 Depth=2
                                        ; =>    This Inner Loop Header: Depth=3
	v_lshl_add_u32 v17, v16, 3, 0
	ds_read_b64 v[9:10], v17
	s_andn2_b64 s[38:39], s[38:39], exec
	s_waitcnt lgkmcnt(0)
	v_cmp_ne_u64_e32 vcc, v[9:10], v[7:8]
	s_and_saveexec_b64 s[40:41], vcc
	s_cbranch_execz .LBB53_12
; %bb.14:                               ;   in Loop: Header=BB53_13 Depth=3
	v_cmp_ne_u64_e32 vcc, s[8:9], v[9:10]
	s_and_saveexec_b64 s[42:43], vcc
	s_xor_b64 s[42:43], exec, s[42:43]
; %bb.15:                               ;   in Loop: Header=BB53_13 Depth=3
	v_add_u32_e32 v9, 1, v16
	v_and_b32_e32 v16, 0xff, v9
                                        ; implicit-def: $vgpr17
; %bb.16:                               ;   in Loop: Header=BB53_13 Depth=3
	s_or_saveexec_b64 s[42:43], s[42:43]
	s_mov_b64 s[44:45], -1
	s_xor_b64 exec, exec, s[42:43]
	s_cbranch_execz .LBB53_11
; %bb.17:                               ;   in Loop: Header=BB53_13 Depth=3
	v_mov_b32_e32 v10, s9
	v_mov_b32_e32 v9, s8
	ds_cmpst_rtn_b64 v[9:10], v17, v[9:10], v[7:8]
	s_waitcnt lgkmcnt(0)
	v_cmp_ne_u64_e32 vcc, s[8:9], v[9:10]
	s_orn2_b64 s[44:45], vcc, exec
	s_branch .LBB53_11
.LBB53_18:
	s_or_b64 exec, exec, s[6:7]
.LBB53_19:
	s_bfe_u32 s2, s33, 0x10008
	s_cmp_eq_u32 s2, 0
	s_cbranch_scc1 .LBB53_32
; %bb.20:
	s_waitcnt lgkmcnt(0)
	s_lshl_b64 s[2:3], s[4:5], 3
	s_add_u32 s2, s22, s2
	s_addc_u32 s3, s23, s3
	s_load_dwordx4 s[12:15], s[2:3], 0x0
	v_subrev_co_u32_e32 v1, vcc, s27, v0
	v_subb_co_u32_e64 v2, s[2:3], 0, 0, vcc
	s_waitcnt lgkmcnt(0)
	s_sub_u32 s2, s14, s27
	v_mov_b32_e32 v3, s13
	v_add_co_u32_e32 v1, vcc, s12, v1
	s_subb_u32 s3, s15, 0
	v_addc_co_u32_e32 v2, vcc, v3, v2, vcc
	v_cmp_gt_i64_e32 vcc, s[2:3], v[1:2]
	s_and_saveexec_b64 s[6:7], vcc
	s_cbranch_execz .LBB53_31
; %bb.21:
	s_mov_b32 s22, s27
	s_mov_b64 s[10:11], 0
	v_mov_b32_e32 v7, s29
	s_movk_i32 s23, 0x89
	s_branch .LBB53_23
.LBB53_22:                              ;   in Loop: Header=BB53_23 Depth=1
	s_or_b64 exec, exec, s[12:13]
	v_add_co_u32_e32 v1, vcc, 0x80, v1
	v_addc_co_u32_e32 v2, vcc, 0, v2, vcc
	v_cmp_le_i64_e32 vcc, s[2:3], v[1:2]
	s_or_b64 s[10:11], vcc, s[10:11]
	s_andn2_b64 exec, exec, s[10:11]
	s_cbranch_execz .LBB53_31
.LBB53_23:                              ; =>This Loop Header: Depth=1
                                        ;     Child Loop BB53_26 Depth 2
	v_lshlrev_b64 v[3:4], 3, v[1:2]
	s_mov_b64 s[12:13], 0
	v_add_co_u32_e32 v3, vcc, s28, v3
	v_addc_co_u32_e32 v4, vcc, v7, v4, vcc
	global_load_dwordx2 v[3:4], v[3:4], off
                                        ; implicit-def: $sgpr14_sgpr15
	s_waitcnt vmcnt(0)
	v_subrev_co_u32_e32 v3, vcc, s22, v3
	v_mul_lo_u32 v5, v3, s23
	v_subbrev_co_u32_e32 v4, vcc, 0, v4, vcc
	v_and_b32_e32 v8, 0xff, v5
	s_branch .LBB53_26
.LBB53_24:                              ;   in Loop: Header=BB53_26 Depth=2
	s_or_b64 exec, exec, s[18:19]
	s_andn2_b64 s[14:15], s[14:15], exec
	s_and_b64 s[18:19], s[20:21], exec
	s_or_b64 s[14:15], s[14:15], s[18:19]
.LBB53_25:                              ;   in Loop: Header=BB53_26 Depth=2
	s_or_b64 exec, exec, s[16:17]
	s_xor_b64 s[16:17], s[14:15], -1
	s_and_b64 s[16:17], exec, s[16:17]
	s_or_b64 s[12:13], s[16:17], s[12:13]
	s_andn2_b64 exec, exec, s[12:13]
	s_cbranch_execz .LBB53_22
.LBB53_26:                              ;   Parent Loop BB53_23 Depth=1
                                        ; =>  This Inner Loop Header: Depth=2
	v_lshl_add_u32 v9, v8, 3, 0
	ds_read_b64 v[5:6], v9
	s_andn2_b64 s[14:15], s[14:15], exec
	s_waitcnt lgkmcnt(0)
	v_cmp_ne_u64_e32 vcc, v[5:6], v[3:4]
	s_and_saveexec_b64 s[16:17], vcc
	s_cbranch_execz .LBB53_25
; %bb.27:                               ;   in Loop: Header=BB53_26 Depth=2
	v_cmp_ne_u64_e32 vcc, s[8:9], v[5:6]
	s_and_saveexec_b64 s[18:19], vcc
	s_xor_b64 s[18:19], exec, s[18:19]
; %bb.28:                               ;   in Loop: Header=BB53_26 Depth=2
	v_add_u32_e32 v5, 1, v8
	v_and_b32_e32 v8, 0xff, v5
                                        ; implicit-def: $vgpr9
; %bb.29:                               ;   in Loop: Header=BB53_26 Depth=2
	s_or_saveexec_b64 s[18:19], s[18:19]
	s_mov_b64 s[20:21], -1
	s_xor_b64 exec, exec, s[18:19]
	s_cbranch_execz .LBB53_24
; %bb.30:                               ;   in Loop: Header=BB53_26 Depth=2
	v_mov_b32_e32 v5, s8
	v_mov_b32_e32 v6, s9
	ds_cmpst_rtn_b64 v[5:6], v9, v[5:6], v[3:4]
	s_waitcnt lgkmcnt(0)
	v_cmp_ne_u64_e32 vcc, s[8:9], v[5:6]
	s_orn2_b64 s[20:21], vcc, exec
	s_branch .LBB53_24
.LBB53_31:
	s_or_b64 exec, exec, s[6:7]
.LBB53_32:
	s_waitcnt lgkmcnt(0)
	s_barrier
	s_and_saveexec_b64 s[6:7], s[0:1]
	s_cbranch_execz .LBB53_41
; %bb.33:
	v_mbcnt_lo_u32_b32 v1, -1, 0
	v_mbcnt_hi_u32_b32 v1, -1, v1
	v_sub_u32_e32 v1, 63, v1
	v_lshrrev_b64 v[3:4], v1, -1
	v_lshrrev_b32_e32 v1, 3, v0
	v_and_b32_e32 v1, 8, v1
	s_movk_i32 s2, 0x7f
	v_mov_b32_e32 v5, 0
	v_mov_b32_e32 v2, 0
	v_add_u32_e32 v12, 0, v1
	v_cmp_lt_u32_e64 s[0:1], 63, v0
	v_cmp_eq_u32_e64 s[2:3], s2, v0
	v_or_b32_e32 v13, 0xffffff80, v0
	v_mov_b32_e32 v6, 0
	s_mov_b64 s[10:11], 0
	s_branch .LBB53_35
.LBB53_34:                              ;   in Loop: Header=BB53_35 Depth=1
	s_or_b64 exec, exec, s[12:13]
	s_waitcnt lgkmcnt(0)
	s_barrier
	ds_read_b64 v[7:8], v2 offset:2056
	v_add_u32_e32 v11, 0x400, v11
	s_waitcnt lgkmcnt(0)
	v_add_co_u32_e32 v5, vcc, v7, v5
	v_addc_co_u32_e32 v6, vcc, v8, v6, vcc
	v_add_co_u32_e32 v13, vcc, 0x80, v13
	s_xor_b64 s[12:13], vcc, -1
	s_and_b64 s[12:13], exec, s[12:13]
	s_or_b64 s[10:11], s[12:13], s[10:11]
	s_andn2_b64 exec, exec, s[10:11]
	s_cbranch_execz .LBB53_41
.LBB53_35:                              ; =>This Inner Loop Header: Depth=1
	ds_read_b64 v[7:8], v11
	s_waitcnt lgkmcnt(0)
	s_barrier
	v_cmp_gt_i64_e32 vcc, s[8:9], v[7:8]
	v_and_b32_e32 v10, vcc_lo, v3
	s_bcnt1_i32_b64 s12, vcc
	v_and_b32_e32 v9, vcc_hi, v4
	v_bcnt_u32_b32 v10, v10, 0
	v_mov_b32_e32 v1, s12
	v_bcnt_u32_b32 v9, v9, v10
	ds_write_b64 v12, v[1:2] offset:2048
	s_waitcnt lgkmcnt(0)
	s_barrier
	s_and_saveexec_b64 s[12:13], s[0:1]
	s_cbranch_execnz .LBB53_38
; %bb.36:                               ;   in Loop: Header=BB53_35 Depth=1
	s_or_b64 exec, exec, s[12:13]
	v_ashrrev_i32_e32 v10, 31, v9
	s_and_saveexec_b64 s[12:13], vcc
	s_cbranch_execnz .LBB53_39
.LBB53_37:                              ;   in Loop: Header=BB53_35 Depth=1
	s_or_b64 exec, exec, s[12:13]
	s_and_saveexec_b64 s[12:13], s[2:3]
	s_cbranch_execz .LBB53_34
	s_branch .LBB53_40
.LBB53_38:                              ;   in Loop: Header=BB53_35 Depth=1
	ds_read_b32 v1, v2 offset:2048
	s_waitcnt lgkmcnt(0)
	v_add_u32_e32 v9, v1, v9
	s_or_b64 exec, exec, s[12:13]
	v_ashrrev_i32_e32 v10, 31, v9
	s_and_saveexec_b64 s[12:13], vcc
	s_cbranch_execz .LBB53_37
.LBB53_39:                              ;   in Loop: Header=BB53_35 Depth=1
	v_lshlrev_b32_e32 v1, 3, v5
	v_add_u32_e32 v1, 0, v1
	v_lshlrev_b32_e32 v14, 3, v9
	v_add3_u32 v1, v1, v14, -8
	ds_write_b64 v1, v[7:8]
	s_or_b64 exec, exec, s[12:13]
	s_and_saveexec_b64 s[12:13], s[2:3]
	s_cbranch_execz .LBB53_34
.LBB53_40:                              ;   in Loop: Header=BB53_35 Depth=1
	ds_write_b64 v2, v[9:10] offset:2056
	s_branch .LBB53_34
.LBB53_41:
	s_or_b64 exec, exec, s[6:7]
	s_lshl_b64 s[0:1], s[4:5], 3
	s_add_u32 s4, s30, s0
	s_addc_u32 s5, s31, s1
	s_load_dwordx4 s[0:3], s[4:5], 0x0
	v_mov_b32_e32 v1, 0
	s_waitcnt lgkmcnt(0)
	s_sub_u32 s4, s2, s0
	s_subb_u32 s5, s3, s1
	v_cmp_gt_i64_e32 vcc, s[4:5], v[0:1]
	s_and_saveexec_b64 s[6:7], vcc
	s_cbranch_execz .LBB53_51
; %bb.42:
	s_sub_u32 s8, s0, s26
	s_subb_u32 s9, s1, 0
	s_and_b32 s6, s4, 7
	s_sub_u32 s0, s0, s2
	s_subb_u32 s1, s1, s3
	v_cmp_lt_u64_e64 s[0:1], s[0:1], -7
	s_mov_b32 s7, 0
	s_and_b32 s10, s4, -8
	s_cmp_lg_u64 s[6:7], 0
	v_cndmask_b32_e64 v2, 0, 1, s[0:1]
	s_mov_b32 s11, s5
	s_mov_b64 s[12:13], 0
	s_cselect_b64 s[14:15], -1, 0
	v_cmp_ne_u32_e64 s[0:1], 1, v2
	s_branch .LBB53_44
.LBB53_43:                              ;   in Loop: Header=BB53_44 Depth=1
	s_waitcnt lgkmcnt(0)
	v_add_co_u32_e32 v2, vcc, s26, v2
	v_addc_co_u32_e32 v3, vcc, 0, v3, vcc
	v_add_co_u32_e32 v0, vcc, 0x80, v0
	v_lshlrev_b64 v[4:5], 3, v[4:5]
	v_addc_co_u32_e32 v1, vcc, 0, v1, vcc
	v_cmp_le_i64_e32 vcc, s[4:5], v[0:1]
	v_mov_b32_e32 v6, s35
	v_add_co_u32_e64 v4, s[2:3], s34, v4
	v_addc_co_u32_e64 v5, s[2:3], v6, v5, s[2:3]
	s_or_b64 s[12:13], vcc, s[12:13]
	global_store_dwordx2 v[4:5], v[2:3], off
	s_andn2_b64 exec, exec, s[12:13]
	s_cbranch_execz .LBB53_51
.LBB53_44:                              ; =>This Loop Header: Depth=1
                                        ;     Child Loop BB53_46 Depth 2
                                        ;     Child Loop BB53_50 Depth 2
	v_lshl_add_u32 v2, v0, 3, 0
	ds_read_b64 v[2:3], v2
	v_mov_b32_e32 v4, s8
	s_and_b64 vcc, exec, s[0:1]
	v_mov_b32_e32 v5, s9
	s_mov_b64 s[2:3], 0
	s_cbranch_vccnz .LBB53_48
; %bb.45:                               ;   in Loop: Header=BB53_44 Depth=1
	v_mov_b32_e32 v4, s8
	s_mov_b64 s[16:17], 0
	s_mov_b32 s18, 0
	v_mov_b32_e32 v5, s9
.LBB53_46:                              ;   Parent Loop BB53_44 Depth=1
                                        ; =>  This Inner Loop Header: Depth=2
	v_mov_b32_e32 v18, s18
	ds_read2_b64 v[6:9], v18 offset1:1
	ds_read2_b64 v[10:13], v18 offset0:2 offset1:3
	ds_read2_b64 v[14:17], v18 offset0:4 offset1:5
	;; [unrolled: 1-line block ×3, first 2 shown]
	s_add_u32 s16, s16, 8
	s_waitcnt lgkmcnt(3)
	v_cmp_gt_i64_e32 vcc, v[2:3], v[8:9]
	v_cmp_gt_i64_e64 s[2:3], v[2:3], v[6:7]
	v_cndmask_b32_e64 v7, 0, 1, vcc
	s_waitcnt lgkmcnt(2)
	v_cmp_gt_i64_e32 vcc, v[2:3], v[10:11]
	v_cndmask_b32_e64 v6, 0, 1, s[2:3]
	v_cndmask_b32_e64 v8, 0, 1, vcc
	v_cmp_gt_i64_e32 vcc, v[2:3], v[12:13]
	s_addc_u32 s17, s17, 0
	v_cndmask_b32_e64 v9, 0, 1, vcc
	s_waitcnt lgkmcnt(1)
	v_cmp_gt_i64_e32 vcc, v[2:3], v[14:15]
	s_add_i32 s18, s18, 64
	v_cndmask_b32_e64 v10, 0, 1, vcc
	v_cmp_gt_i64_e32 vcc, v[2:3], v[16:17]
	s_cmp_eq_u64 s[10:11], s[16:17]
	v_cndmask_b32_e64 v11, 0, 1, vcc
	s_waitcnt lgkmcnt(0)
	v_cmp_gt_i64_e32 vcc, v[2:3], v[18:19]
	v_cndmask_b32_e64 v12, 0, 1, vcc
	v_cmp_gt_i64_e32 vcc, v[2:3], v[20:21]
	v_cndmask_b32_e64 v13, 0, 1, vcc
	v_add_co_u32_e32 v4, vcc, v4, v6
	v_addc_co_u32_e32 v5, vcc, 0, v5, vcc
	v_add_co_u32_e32 v4, vcc, v4, v7
	v_addc_co_u32_e32 v5, vcc, 0, v5, vcc
	;; [unrolled: 2-line block ×8, first 2 shown]
	s_cbranch_scc0 .LBB53_46
; %bb.47:                               ;   in Loop: Header=BB53_44 Depth=1
	s_mov_b64 s[2:3], s[10:11]
.LBB53_48:                              ;   in Loop: Header=BB53_44 Depth=1
	s_andn2_b64 vcc, exec, s[14:15]
	s_cbranch_vccnz .LBB53_43
; %bb.49:                               ;   in Loop: Header=BB53_44 Depth=1
	s_lshl_b32 s2, s2, 3
	s_add_i32 s16, s2, 0
	s_mov_b64 s[2:3], s[6:7]
.LBB53_50:                              ;   Parent Loop BB53_44 Depth=1
                                        ; =>  This Inner Loop Header: Depth=2
	v_mov_b32_e32 v6, s16
	ds_read_b64 v[6:7], v6
	s_add_i32 s16, s16, 8
	s_add_u32 s2, s2, -1
	s_addc_u32 s3, s3, -1
	s_cmp_lg_u64 s[2:3], 0
	s_waitcnt lgkmcnt(0)
	v_cmp_gt_i64_e32 vcc, v[2:3], v[6:7]
	v_cndmask_b32_e64 v6, 0, 1, vcc
	v_add_co_u32_e32 v4, vcc, v4, v6
	v_addc_co_u32_e32 v5, vcc, 0, v5, vcc
	s_cbranch_scc1 .LBB53_50
	s_branch .LBB53_43
.LBB53_51:
	s_endpgm
	.section	.rodata,"a",@progbits
	.p2align	6, 0x0
	.amdhsa_kernel _ZN9rocsparseL35csrgemm_symbolic_fill_block_per_rowILj128ELj16ELj256ELj137ELj64EllEEvT5_PKS1_S3_PKT4_S3_S6_S3_S6_S3_S6_PS1_21rocsparse_index_base_S8_S8_S8_bb
		.amdhsa_group_segment_fixed_size 0
		.amdhsa_private_segment_fixed_size 0
		.amdhsa_kernarg_size 108
		.amdhsa_user_sgpr_count 6
		.amdhsa_user_sgpr_private_segment_buffer 1
		.amdhsa_user_sgpr_dispatch_ptr 0
		.amdhsa_user_sgpr_queue_ptr 0
		.amdhsa_user_sgpr_kernarg_segment_ptr 1
		.amdhsa_user_sgpr_dispatch_id 0
		.amdhsa_user_sgpr_flat_scratch_init 0
		.amdhsa_user_sgpr_private_segment_size 0
		.amdhsa_uses_dynamic_stack 0
		.amdhsa_system_sgpr_private_segment_wavefront_offset 0
		.amdhsa_system_sgpr_workgroup_id_x 1
		.amdhsa_system_sgpr_workgroup_id_y 0
		.amdhsa_system_sgpr_workgroup_id_z 0
		.amdhsa_system_sgpr_workgroup_info 0
		.amdhsa_system_vgpr_workitem_id 0
		.amdhsa_next_free_vgpr 22
		.amdhsa_next_free_sgpr 47
		.amdhsa_reserve_vcc 1
		.amdhsa_reserve_flat_scratch 0
		.amdhsa_float_round_mode_32 0
		.amdhsa_float_round_mode_16_64 0
		.amdhsa_float_denorm_mode_32 3
		.amdhsa_float_denorm_mode_16_64 3
		.amdhsa_dx10_clamp 1
		.amdhsa_ieee_mode 1
		.amdhsa_fp16_overflow 0
		.amdhsa_exception_fp_ieee_invalid_op 0
		.amdhsa_exception_fp_denorm_src 0
		.amdhsa_exception_fp_ieee_div_zero 0
		.amdhsa_exception_fp_ieee_overflow 0
		.amdhsa_exception_fp_ieee_underflow 0
		.amdhsa_exception_fp_ieee_inexact 0
		.amdhsa_exception_int_div_zero 0
	.end_amdhsa_kernel
	.section	.text._ZN9rocsparseL35csrgemm_symbolic_fill_block_per_rowILj128ELj16ELj256ELj137ELj64EllEEvT5_PKS1_S3_PKT4_S3_S6_S3_S6_S3_S6_PS1_21rocsparse_index_base_S8_S8_S8_bb,"axG",@progbits,_ZN9rocsparseL35csrgemm_symbolic_fill_block_per_rowILj128ELj16ELj256ELj137ELj64EllEEvT5_PKS1_S3_PKT4_S3_S6_S3_S6_S3_S6_PS1_21rocsparse_index_base_S8_S8_S8_bb,comdat
.Lfunc_end53:
	.size	_ZN9rocsparseL35csrgemm_symbolic_fill_block_per_rowILj128ELj16ELj256ELj137ELj64EllEEvT5_PKS1_S3_PKT4_S3_S6_S3_S6_S3_S6_PS1_21rocsparse_index_base_S8_S8_S8_bb, .Lfunc_end53-_ZN9rocsparseL35csrgemm_symbolic_fill_block_per_rowILj128ELj16ELj256ELj137ELj64EllEEvT5_PKS1_S3_PKT4_S3_S6_S3_S6_S3_S6_PS1_21rocsparse_index_base_S8_S8_S8_bb
                                        ; -- End function
	.set _ZN9rocsparseL35csrgemm_symbolic_fill_block_per_rowILj128ELj16ELj256ELj137ELj64EllEEvT5_PKS1_S3_PKT4_S3_S6_S3_S6_S3_S6_PS1_21rocsparse_index_base_S8_S8_S8_bb.num_vgpr, 22
	.set _ZN9rocsparseL35csrgemm_symbolic_fill_block_per_rowILj128ELj16ELj256ELj137ELj64EllEEvT5_PKS1_S3_PKT4_S3_S6_S3_S6_S3_S6_PS1_21rocsparse_index_base_S8_S8_S8_bb.num_agpr, 0
	.set _ZN9rocsparseL35csrgemm_symbolic_fill_block_per_rowILj128ELj16ELj256ELj137ELj64EllEEvT5_PKS1_S3_PKT4_S3_S6_S3_S6_S3_S6_PS1_21rocsparse_index_base_S8_S8_S8_bb.numbered_sgpr, 47
	.set _ZN9rocsparseL35csrgemm_symbolic_fill_block_per_rowILj128ELj16ELj256ELj137ELj64EllEEvT5_PKS1_S3_PKT4_S3_S6_S3_S6_S3_S6_PS1_21rocsparse_index_base_S8_S8_S8_bb.num_named_barrier, 0
	.set _ZN9rocsparseL35csrgemm_symbolic_fill_block_per_rowILj128ELj16ELj256ELj137ELj64EllEEvT5_PKS1_S3_PKT4_S3_S6_S3_S6_S3_S6_PS1_21rocsparse_index_base_S8_S8_S8_bb.private_seg_size, 0
	.set _ZN9rocsparseL35csrgemm_symbolic_fill_block_per_rowILj128ELj16ELj256ELj137ELj64EllEEvT5_PKS1_S3_PKT4_S3_S6_S3_S6_S3_S6_PS1_21rocsparse_index_base_S8_S8_S8_bb.uses_vcc, 1
	.set _ZN9rocsparseL35csrgemm_symbolic_fill_block_per_rowILj128ELj16ELj256ELj137ELj64EllEEvT5_PKS1_S3_PKT4_S3_S6_S3_S6_S3_S6_PS1_21rocsparse_index_base_S8_S8_S8_bb.uses_flat_scratch, 0
	.set _ZN9rocsparseL35csrgemm_symbolic_fill_block_per_rowILj128ELj16ELj256ELj137ELj64EllEEvT5_PKS1_S3_PKT4_S3_S6_S3_S6_S3_S6_PS1_21rocsparse_index_base_S8_S8_S8_bb.has_dyn_sized_stack, 0
	.set _ZN9rocsparseL35csrgemm_symbolic_fill_block_per_rowILj128ELj16ELj256ELj137ELj64EllEEvT5_PKS1_S3_PKT4_S3_S6_S3_S6_S3_S6_PS1_21rocsparse_index_base_S8_S8_S8_bb.has_recursion, 0
	.set _ZN9rocsparseL35csrgemm_symbolic_fill_block_per_rowILj128ELj16ELj256ELj137ELj64EllEEvT5_PKS1_S3_PKT4_S3_S6_S3_S6_S3_S6_PS1_21rocsparse_index_base_S8_S8_S8_bb.has_indirect_call, 0
	.section	.AMDGPU.csdata,"",@progbits
; Kernel info:
; codeLenInByte = 2008
; TotalNumSgprs: 51
; NumVgprs: 22
; ScratchSize: 0
; MemoryBound: 0
; FloatMode: 240
; IeeeMode: 1
; LDSByteSize: 0 bytes/workgroup (compile time only)
; SGPRBlocks: 6
; VGPRBlocks: 5
; NumSGPRsForWavesPerEU: 51
; NumVGPRsForWavesPerEU: 22
; Occupancy: 10
; WaveLimiterHint : 1
; COMPUTE_PGM_RSRC2:SCRATCH_EN: 0
; COMPUTE_PGM_RSRC2:USER_SGPR: 6
; COMPUTE_PGM_RSRC2:TRAP_HANDLER: 0
; COMPUTE_PGM_RSRC2:TGID_X_EN: 1
; COMPUTE_PGM_RSRC2:TGID_Y_EN: 0
; COMPUTE_PGM_RSRC2:TGID_Z_EN: 0
; COMPUTE_PGM_RSRC2:TIDIG_COMP_CNT: 0
	.section	.text._ZN9rocsparseL35csrgemm_symbolic_fill_block_per_rowILj256ELj32ELj512ELj137ELj32EllEEvT5_PKS1_S3_PKT4_S3_S6_S3_S6_S3_S6_PS1_21rocsparse_index_base_S8_S8_S8_bb,"axG",@progbits,_ZN9rocsparseL35csrgemm_symbolic_fill_block_per_rowILj256ELj32ELj512ELj137ELj32EllEEvT5_PKS1_S3_PKT4_S3_S6_S3_S6_S3_S6_PS1_21rocsparse_index_base_S8_S8_S8_bb,comdat
	.globl	_ZN9rocsparseL35csrgemm_symbolic_fill_block_per_rowILj256ELj32ELj512ELj137ELj32EllEEvT5_PKS1_S3_PKT4_S3_S6_S3_S6_S3_S6_PS1_21rocsparse_index_base_S8_S8_S8_bb ; -- Begin function _ZN9rocsparseL35csrgemm_symbolic_fill_block_per_rowILj256ELj32ELj512ELj137ELj32EllEEvT5_PKS1_S3_PKT4_S3_S6_S3_S6_S3_S6_PS1_21rocsparse_index_base_S8_S8_S8_bb
	.p2align	8
	.type	_ZN9rocsparseL35csrgemm_symbolic_fill_block_per_rowILj256ELj32ELj512ELj137ELj32EllEEvT5_PKS1_S3_PKT4_S3_S6_S3_S6_S3_S6_PS1_21rocsparse_index_base_S8_S8_S8_bb,@function
_ZN9rocsparseL35csrgemm_symbolic_fill_block_per_rowILj256ELj32ELj512ELj137ELj32EllEEvT5_PKS1_S3_PKT4_S3_S6_S3_S6_S3_S6_PS1_21rocsparse_index_base_S8_S8_S8_bb: ; @_ZN9rocsparseL35csrgemm_symbolic_fill_block_per_rowILj256ELj32ELj512ELj137ELj32EllEEvT5_PKS1_S3_PKT4_S3_S6_S3_S6_S3_S6_PS1_21rocsparse_index_base_S8_S8_S8_bb
; %bb.0:
	s_load_dwordx2 s[34:35], s[4:5], 0x50
	s_load_dwordx4 s[28:31], s[4:5], 0x40
	s_load_dwordx8 s[16:23], s[4:5], 0x0
	s_load_dwordx8 s[8:15], s[4:5], 0x20
	s_movk_i32 s0, 0x200
	v_cmp_gt_u32_e64 s[0:1], s0, v0
	v_lshl_add_u32 v11, v0, 3, 0
	s_and_saveexec_b64 s[2:3], s[0:1]
	s_cbranch_execz .LBB54_3
; %bb.1:
	s_waitcnt lgkmcnt(0)
	v_mov_b32_e32 v1, s16
	v_or_b32_e32 v3, 0xffffff00, v0
	v_lshl_add_u32 v4, v0, 3, 0
	s_mov_b64 s[24:25], 0
	v_mov_b32_e32 v2, s17
.LBB54_2:                               ; =>This Inner Loop Header: Depth=1
	v_add_co_u32_e32 v3, vcc, 0x100, v3
	s_xor_b64 s[26:27], vcc, -1
	s_and_b64 s[26:27], exec, s[26:27]
	ds_write_b64 v4, v[1:2]
	s_or_b64 s[24:25], s[26:27], s[24:25]
	v_add_u32_e32 v4, 0x800, v4
	s_andn2_b64 exec, exec, s[24:25]
	s_cbranch_execnz .LBB54_2
.LBB54_3:
	s_or_b64 exec, exec, s[2:3]
	s_load_dword s33, s[4:5], 0x68
	s_waitcnt lgkmcnt(0)
	s_barrier
	s_load_dwordx2 s[2:3], s[18:19], 0x0
	s_load_dwordx4 s[24:27], s[4:5], 0x58
	s_bitcmp1_b32 s33, 0
	s_cselect_b64 s[4:5], -1, 0
	s_mov_b32 s7, 0
	s_waitcnt lgkmcnt(0)
	s_lshl_b64 s[2:3], s[2:3], 3
	s_add_u32 s18, s20, s2
	s_addc_u32 s19, s21, s3
	s_lshl_b64 s[2:3], s[6:7], 3
	s_add_u32 s2, s18, s2
	s_addc_u32 s3, s19, s3
	s_load_dwordx2 s[18:19], s[2:3], 0x0
	v_lshrrev_b32_e32 v12, 5, v0
	s_and_b64 vcc, exec, s[4:5]
	s_cbranch_vccz .LBB54_19
; %bb.4:
	s_waitcnt lgkmcnt(0)
	s_lshl_b64 s[2:3], s[18:19], 3
	s_add_u32 s2, s22, s2
	s_addc_u32 s3, s23, s3
	s_load_dwordx4 s[4:7], s[2:3], 0x0
	v_subrev_co_u32_e32 v1, vcc, s24, v12
	v_subb_co_u32_e64 v2, s[2:3], 0, 0, vcc
	s_waitcnt lgkmcnt(0)
	s_sub_u32 s2, s6, s24
	v_mov_b32_e32 v3, s5
	v_add_co_u32_e32 v1, vcc, s4, v1
	s_subb_u32 s3, s7, 0
	v_addc_co_u32_e32 v2, vcc, v3, v2, vcc
	v_cmp_gt_i64_e32 vcc, s[2:3], v[1:2]
	s_and_saveexec_b64 s[4:5], vcc
	s_cbranch_execz .LBB54_18
; %bb.5:
	v_and_b32_e32 v3, 31, v0
	v_subrev_co_u32_e32 v13, vcc, s25, v3
	v_subb_co_u32_e64 v14, s[6:7], 0, 0, vcc
	s_mov_b32 s46, s25
	s_mov_b64 s[6:7], 0
	v_mov_b32_e32 v15, s9
	v_mov_b32_e32 v16, s11
	s_movk_i32 s9, 0x89
	s_branch .LBB54_7
.LBB54_6:                               ;   in Loop: Header=BB54_7 Depth=1
	s_or_b64 exec, exec, s[20:21]
	v_add_co_u32_e32 v1, vcc, 8, v1
	v_addc_co_u32_e32 v2, vcc, 0, v2, vcc
	v_cmp_le_i64_e32 vcc, s[2:3], v[1:2]
	s_or_b64 s[6:7], vcc, s[6:7]
	s_andn2_b64 exec, exec, s[6:7]
	s_cbranch_execz .LBB54_18
.LBB54_7:                               ; =>This Loop Header: Depth=1
                                        ;     Child Loop BB54_10 Depth 2
                                        ;       Child Loop BB54_13 Depth 3
	v_lshlrev_b64 v[3:4], 3, v[1:2]
	v_add_co_u32_e32 v3, vcc, s8, v3
	v_addc_co_u32_e32 v4, vcc, v15, v4, vcc
	global_load_dwordx2 v[3:4], v[3:4], off
	s_waitcnt vmcnt(0)
	v_subrev_co_u32_e32 v3, vcc, s24, v3
	v_subbrev_co_u32_e32 v4, vcc, 0, v4, vcc
	v_lshlrev_b64 v[3:4], 3, v[3:4]
	v_add_co_u32_e32 v3, vcc, s10, v3
	v_addc_co_u32_e32 v4, vcc, v16, v4, vcc
	global_load_dwordx4 v[5:8], v[3:4], off
	s_waitcnt vmcnt(0)
	v_subrev_co_u32_e32 v3, vcc, s46, v7
	v_subbrev_co_u32_e32 v4, vcc, 0, v8, vcc
	v_add_co_u32_e32 v5, vcc, v5, v13
	v_addc_co_u32_e32 v6, vcc, v6, v14, vcc
	v_cmp_lt_i64_e32 vcc, v[5:6], v[3:4]
	s_and_saveexec_b64 s[20:21], vcc
	s_cbranch_execz .LBB54_6
; %bb.8:                                ;   in Loop: Header=BB54_7 Depth=1
	s_mov_b64 s[22:23], 0
	s_branch .LBB54_10
.LBB54_9:                               ;   in Loop: Header=BB54_10 Depth=2
	s_or_b64 exec, exec, s[36:37]
	v_add_co_u32_e32 v5, vcc, 32, v5
	v_addc_co_u32_e32 v6, vcc, 0, v6, vcc
	v_cmp_ge_i64_e32 vcc, v[5:6], v[3:4]
	s_or_b64 s[22:23], vcc, s[22:23]
	s_andn2_b64 exec, exec, s[22:23]
	s_cbranch_execz .LBB54_6
.LBB54_10:                              ;   Parent Loop BB54_7 Depth=1
                                        ; =>  This Loop Header: Depth=2
                                        ;       Child Loop BB54_13 Depth 3
	v_lshlrev_b64 v[7:8], 3, v[5:6]
	v_mov_b32_e32 v9, s13
	v_add_co_u32_e32 v7, vcc, s12, v7
	v_addc_co_u32_e32 v8, vcc, v9, v8, vcc
	global_load_dwordx2 v[7:8], v[7:8], off
	s_mov_b64 s[36:37], 0
                                        ; implicit-def: $sgpr38_sgpr39
	s_waitcnt vmcnt(0)
	v_subrev_co_u32_e32 v7, vcc, s46, v7
	v_mul_lo_u32 v9, v7, s9
	v_subbrev_co_u32_e32 v8, vcc, 0, v8, vcc
	v_and_b32_e32 v17, 0x1ff, v9
	s_branch .LBB54_13
.LBB54_11:                              ;   in Loop: Header=BB54_13 Depth=3
	s_or_b64 exec, exec, s[42:43]
	s_andn2_b64 s[38:39], s[38:39], exec
	s_and_b64 s[42:43], s[44:45], exec
	s_or_b64 s[38:39], s[38:39], s[42:43]
.LBB54_12:                              ;   in Loop: Header=BB54_13 Depth=3
	s_or_b64 exec, exec, s[40:41]
	s_xor_b64 s[40:41], s[38:39], -1
	s_and_b64 s[40:41], exec, s[40:41]
	s_or_b64 s[36:37], s[40:41], s[36:37]
	s_andn2_b64 exec, exec, s[36:37]
	s_cbranch_execz .LBB54_9
.LBB54_13:                              ;   Parent Loop BB54_7 Depth=1
                                        ;     Parent Loop BB54_10 Depth=2
                                        ; =>    This Inner Loop Header: Depth=3
	v_lshl_add_u32 v18, v17, 3, 0
	ds_read_b64 v[9:10], v18
	s_andn2_b64 s[38:39], s[38:39], exec
	s_waitcnt lgkmcnt(0)
	v_cmp_ne_u64_e32 vcc, v[9:10], v[7:8]
	s_and_saveexec_b64 s[40:41], vcc
	s_cbranch_execz .LBB54_12
; %bb.14:                               ;   in Loop: Header=BB54_13 Depth=3
	v_cmp_ne_u64_e32 vcc, s[16:17], v[9:10]
	s_and_saveexec_b64 s[42:43], vcc
	s_xor_b64 s[42:43], exec, s[42:43]
; %bb.15:                               ;   in Loop: Header=BB54_13 Depth=3
	v_add_u32_e32 v9, 1, v17
	v_and_b32_e32 v17, 0x1ff, v9
                                        ; implicit-def: $vgpr18
; %bb.16:                               ;   in Loop: Header=BB54_13 Depth=3
	s_or_saveexec_b64 s[42:43], s[42:43]
	s_mov_b64 s[44:45], -1
	s_xor_b64 exec, exec, s[42:43]
	s_cbranch_execz .LBB54_11
; %bb.17:                               ;   in Loop: Header=BB54_13 Depth=3
	v_mov_b32_e32 v9, s16
	v_mov_b32_e32 v10, s17
	ds_cmpst_rtn_b64 v[9:10], v18, v[9:10], v[7:8]
	s_waitcnt lgkmcnt(0)
	v_cmp_ne_u64_e32 vcc, s[16:17], v[9:10]
	s_orn2_b64 s[44:45], vcc, exec
	s_branch .LBB54_11
.LBB54_18:
	s_or_b64 exec, exec, s[4:5]
.LBB54_19:
	s_bfe_u32 s2, s33, 0x10008
	s_cmp_eq_u32 s2, 0
	s_cbranch_scc1 .LBB54_32
; %bb.20:
	s_waitcnt lgkmcnt(0)
	s_lshl_b64 s[2:3], s[18:19], 3
	s_add_u32 s2, s14, s2
	s_addc_u32 s3, s15, s3
	s_load_dwordx4 s[4:7], s[2:3], 0x0
	v_subrev_co_u32_e32 v1, vcc, s27, v0
	v_subb_co_u32_e64 v2, s[2:3], 0, 0, vcc
	s_waitcnt lgkmcnt(0)
	s_sub_u32 s2, s6, s27
	v_mov_b32_e32 v3, s5
	v_add_co_u32_e32 v1, vcc, s4, v1
	s_subb_u32 s3, s7, 0
	v_addc_co_u32_e32 v2, vcc, v3, v2, vcc
	v_cmp_gt_i64_e32 vcc, s[2:3], v[1:2]
	s_and_saveexec_b64 s[4:5], vcc
	s_cbranch_execz .LBB54_31
; %bb.21:
	s_mov_b32 s22, s27
	s_mov_b64 s[6:7], 0
	v_mov_b32_e32 v7, s29
	s_movk_i32 s23, 0x89
	s_branch .LBB54_23
.LBB54_22:                              ;   in Loop: Header=BB54_23 Depth=1
	s_or_b64 exec, exec, s[8:9]
	v_add_co_u32_e32 v1, vcc, 0x100, v1
	v_addc_co_u32_e32 v2, vcc, 0, v2, vcc
	v_cmp_le_i64_e32 vcc, s[2:3], v[1:2]
	s_or_b64 s[6:7], vcc, s[6:7]
	s_andn2_b64 exec, exec, s[6:7]
	s_cbranch_execz .LBB54_31
.LBB54_23:                              ; =>This Loop Header: Depth=1
                                        ;     Child Loop BB54_26 Depth 2
	v_lshlrev_b64 v[3:4], 3, v[1:2]
	s_mov_b64 s[8:9], 0
	v_add_co_u32_e32 v3, vcc, s28, v3
	v_addc_co_u32_e32 v4, vcc, v7, v4, vcc
	global_load_dwordx2 v[3:4], v[3:4], off
                                        ; implicit-def: $sgpr10_sgpr11
	s_waitcnt vmcnt(0)
	v_subrev_co_u32_e32 v3, vcc, s22, v3
	v_mul_lo_u32 v5, v3, s23
	v_subbrev_co_u32_e32 v4, vcc, 0, v4, vcc
	v_and_b32_e32 v8, 0x1ff, v5
	s_branch .LBB54_26
.LBB54_24:                              ;   in Loop: Header=BB54_26 Depth=2
	s_or_b64 exec, exec, s[14:15]
	s_andn2_b64 s[10:11], s[10:11], exec
	s_and_b64 s[14:15], s[20:21], exec
	s_or_b64 s[10:11], s[10:11], s[14:15]
.LBB54_25:                              ;   in Loop: Header=BB54_26 Depth=2
	s_or_b64 exec, exec, s[12:13]
	s_xor_b64 s[12:13], s[10:11], -1
	s_and_b64 s[12:13], exec, s[12:13]
	s_or_b64 s[8:9], s[12:13], s[8:9]
	s_andn2_b64 exec, exec, s[8:9]
	s_cbranch_execz .LBB54_22
.LBB54_26:                              ;   Parent Loop BB54_23 Depth=1
                                        ; =>  This Inner Loop Header: Depth=2
	v_lshl_add_u32 v9, v8, 3, 0
	ds_read_b64 v[5:6], v9
	s_andn2_b64 s[10:11], s[10:11], exec
	s_waitcnt lgkmcnt(0)
	v_cmp_ne_u64_e32 vcc, v[5:6], v[3:4]
	s_and_saveexec_b64 s[12:13], vcc
	s_cbranch_execz .LBB54_25
; %bb.27:                               ;   in Loop: Header=BB54_26 Depth=2
	v_cmp_ne_u64_e32 vcc, s[16:17], v[5:6]
	s_and_saveexec_b64 s[14:15], vcc
	s_xor_b64 s[14:15], exec, s[14:15]
; %bb.28:                               ;   in Loop: Header=BB54_26 Depth=2
	v_add_u32_e32 v5, 1, v8
	v_and_b32_e32 v8, 0x1ff, v5
                                        ; implicit-def: $vgpr9
; %bb.29:                               ;   in Loop: Header=BB54_26 Depth=2
	s_or_saveexec_b64 s[14:15], s[14:15]
	s_mov_b64 s[20:21], -1
	s_xor_b64 exec, exec, s[14:15]
	s_cbranch_execz .LBB54_24
; %bb.30:                               ;   in Loop: Header=BB54_26 Depth=2
	v_mov_b32_e32 v5, s16
	v_mov_b32_e32 v6, s17
	ds_cmpst_rtn_b64 v[5:6], v9, v[5:6], v[3:4]
	s_waitcnt lgkmcnt(0)
	v_cmp_ne_u64_e32 vcc, s[16:17], v[5:6]
	s_orn2_b64 s[20:21], vcc, exec
	s_branch .LBB54_24
.LBB54_31:
	s_or_b64 exec, exec, s[4:5]
.LBB54_32:
	s_waitcnt lgkmcnt(0)
	s_barrier
	s_and_saveexec_b64 s[20:21], s[0:1]
	s_cbranch_execz .LBB54_53
; %bb.33:
	v_mbcnt_lo_u32_b32 v1, -1, 0
	v_mbcnt_hi_u32_b32 v1, -1, v1
	v_sub_u32_e32 v1, 63, v1
	v_lshrrev_b64 v[3:4], v1, -1
	s_movk_i32 s0, 0xff
	s_movk_i32 s6, 0x5f
	;; [unrolled: 1-line block ×6, first 2 shown]
	v_mov_b32_e32 v5, 0
	v_mov_b32_e32 v2, 0
	v_lshl_add_u32 v12, v12, 3, 0
	v_cmp_eq_u32_e64 s[0:1], s0, v0
	v_cmp_lt_u32_e64 s[2:3], 31, v0
	v_cmp_lt_u32_e64 s[4:5], 63, v0
	;; [unrolled: 1-line block ×7, first 2 shown]
	v_or_b32_e32 v13, 0xffffff00, v0
	v_mov_b32_e32 v6, 0
	s_mov_b64 s[22:23], 0
	s_branch .LBB54_35
.LBB54_34:                              ;   in Loop: Header=BB54_35 Depth=1
	s_or_b64 exec, exec, s[24:25]
	s_waitcnt lgkmcnt(0)
	s_barrier
	ds_read_b64 v[7:8], v2 offset:4152
	v_add_u32_e32 v11, 0x800, v11
	s_waitcnt lgkmcnt(0)
	v_add_co_u32_e32 v5, vcc, v7, v5
	v_addc_co_u32_e32 v6, vcc, v8, v6, vcc
	v_add_co_u32_e32 v13, vcc, 0x100, v13
	s_xor_b64 s[24:25], vcc, -1
	s_and_b64 s[24:25], exec, s[24:25]
	s_or_b64 s[22:23], s[24:25], s[22:23]
	s_andn2_b64 exec, exec, s[22:23]
	s_cbranch_execz .LBB54_53
.LBB54_35:                              ; =>This Inner Loop Header: Depth=1
	ds_read_b64 v[7:8], v11
	s_waitcnt lgkmcnt(0)
	s_barrier
	v_cmp_gt_i64_e32 vcc, s[16:17], v[7:8]
	v_and_b32_e32 v10, vcc_lo, v3
	s_bcnt1_i32_b64 s24, vcc
	v_and_b32_e32 v9, vcc_hi, v4
	v_bcnt_u32_b32 v10, v10, 0
	v_mov_b32_e32 v1, s24
	v_bcnt_u32_b32 v9, v9, v10
	ds_write_b64 v12, v[1:2] offset:4096
	s_waitcnt lgkmcnt(0)
	s_barrier
	s_and_saveexec_b64 s[24:25], s[2:3]
	s_cbranch_execnz .LBB54_44
; %bb.36:                               ;   in Loop: Header=BB54_35 Depth=1
	s_or_b64 exec, exec, s[24:25]
	s_and_saveexec_b64 s[24:25], s[4:5]
	s_cbranch_execnz .LBB54_45
.LBB54_37:                              ;   in Loop: Header=BB54_35 Depth=1
	s_or_b64 exec, exec, s[24:25]
	s_and_saveexec_b64 s[24:25], s[6:7]
	s_cbranch_execnz .LBB54_46
.LBB54_38:                              ;   in Loop: Header=BB54_35 Depth=1
	s_or_b64 exec, exec, s[24:25]
	s_and_saveexec_b64 s[24:25], s[8:9]
	s_cbranch_execnz .LBB54_47
.LBB54_39:                              ;   in Loop: Header=BB54_35 Depth=1
	s_or_b64 exec, exec, s[24:25]
	s_and_saveexec_b64 s[24:25], s[10:11]
	s_cbranch_execnz .LBB54_48
.LBB54_40:                              ;   in Loop: Header=BB54_35 Depth=1
	s_or_b64 exec, exec, s[24:25]
	s_and_saveexec_b64 s[24:25], s[12:13]
	s_cbranch_execnz .LBB54_49
.LBB54_41:                              ;   in Loop: Header=BB54_35 Depth=1
	s_or_b64 exec, exec, s[24:25]
	s_and_saveexec_b64 s[24:25], s[14:15]
	s_cbranch_execnz .LBB54_50
.LBB54_42:                              ;   in Loop: Header=BB54_35 Depth=1
	s_or_b64 exec, exec, s[24:25]
	v_ashrrev_i32_e32 v10, 31, v9
	s_and_saveexec_b64 s[24:25], vcc
	s_cbranch_execnz .LBB54_51
.LBB54_43:                              ;   in Loop: Header=BB54_35 Depth=1
	s_or_b64 exec, exec, s[24:25]
	s_and_saveexec_b64 s[24:25], s[0:1]
	s_cbranch_execz .LBB54_34
	s_branch .LBB54_52
.LBB54_44:                              ;   in Loop: Header=BB54_35 Depth=1
	ds_read_b32 v1, v2 offset:4096
	s_waitcnt lgkmcnt(0)
	v_add_u32_e32 v9, v1, v9
	s_or_b64 exec, exec, s[24:25]
	s_and_saveexec_b64 s[24:25], s[4:5]
	s_cbranch_execz .LBB54_37
.LBB54_45:                              ;   in Loop: Header=BB54_35 Depth=1
	ds_read_b32 v1, v2 offset:4104
	s_waitcnt lgkmcnt(0)
	v_add_u32_e32 v9, v9, v1
	s_or_b64 exec, exec, s[24:25]
	s_and_saveexec_b64 s[24:25], s[6:7]
	s_cbranch_execz .LBB54_38
.LBB54_46:                              ;   in Loop: Header=BB54_35 Depth=1
	ds_read_b32 v1, v2 offset:4112
	s_waitcnt lgkmcnt(0)
	v_add_u32_e32 v9, v9, v1
	s_or_b64 exec, exec, s[24:25]
	s_and_saveexec_b64 s[24:25], s[8:9]
	s_cbranch_execz .LBB54_39
.LBB54_47:                              ;   in Loop: Header=BB54_35 Depth=1
	ds_read_b32 v1, v2 offset:4120
	s_waitcnt lgkmcnt(0)
	v_add_u32_e32 v9, v9, v1
	s_or_b64 exec, exec, s[24:25]
	s_and_saveexec_b64 s[24:25], s[10:11]
	s_cbranch_execz .LBB54_40
.LBB54_48:                              ;   in Loop: Header=BB54_35 Depth=1
	ds_read_b32 v1, v2 offset:4128
	s_waitcnt lgkmcnt(0)
	v_add_u32_e32 v9, v9, v1
	s_or_b64 exec, exec, s[24:25]
	s_and_saveexec_b64 s[24:25], s[12:13]
	s_cbranch_execz .LBB54_41
.LBB54_49:                              ;   in Loop: Header=BB54_35 Depth=1
	ds_read_b32 v1, v2 offset:4136
	s_waitcnt lgkmcnt(0)
	v_add_u32_e32 v9, v9, v1
	s_or_b64 exec, exec, s[24:25]
	s_and_saveexec_b64 s[24:25], s[14:15]
	s_cbranch_execz .LBB54_42
.LBB54_50:                              ;   in Loop: Header=BB54_35 Depth=1
	ds_read_b32 v1, v2 offset:4144
	s_waitcnt lgkmcnt(0)
	v_add_u32_e32 v9, v9, v1
	s_or_b64 exec, exec, s[24:25]
	v_ashrrev_i32_e32 v10, 31, v9
	s_and_saveexec_b64 s[24:25], vcc
	s_cbranch_execz .LBB54_43
.LBB54_51:                              ;   in Loop: Header=BB54_35 Depth=1
	v_lshlrev_b32_e32 v1, 3, v5
	v_add_u32_e32 v1, 0, v1
	v_lshlrev_b32_e32 v14, 3, v9
	v_add3_u32 v1, v1, v14, -8
	ds_write_b64 v1, v[7:8]
	s_or_b64 exec, exec, s[24:25]
	s_and_saveexec_b64 s[24:25], s[0:1]
	s_cbranch_execz .LBB54_34
.LBB54_52:                              ;   in Loop: Header=BB54_35 Depth=1
	ds_write_b64 v2, v[9:10] offset:4152
	s_branch .LBB54_34
.LBB54_53:
	s_or_b64 exec, exec, s[20:21]
	s_lshl_b64 s[0:1], s[18:19], 3
	s_add_u32 s4, s30, s0
	s_addc_u32 s5, s31, s1
	s_load_dwordx4 s[0:3], s[4:5], 0x0
	v_mov_b32_e32 v1, 0
	s_waitcnt lgkmcnt(0)
	s_sub_u32 s4, s2, s0
	s_subb_u32 s5, s3, s1
	v_cmp_gt_i64_e32 vcc, s[4:5], v[0:1]
	s_and_saveexec_b64 s[6:7], vcc
	s_cbranch_execz .LBB54_63
; %bb.54:
	s_sub_u32 s8, s0, s26
	s_subb_u32 s9, s1, 0
	s_and_b32 s6, s4, 7
	s_sub_u32 s0, s0, s2
	s_subb_u32 s1, s1, s3
	v_cmp_lt_u64_e64 s[0:1], s[0:1], -7
	s_mov_b32 s7, 0
	s_and_b32 s10, s4, -8
	s_cmp_lg_u64 s[6:7], 0
	v_cndmask_b32_e64 v2, 0, 1, s[0:1]
	s_mov_b32 s11, s5
	s_mov_b64 s[12:13], 0
	s_cselect_b64 s[14:15], -1, 0
	v_cmp_ne_u32_e64 s[0:1], 1, v2
	s_branch .LBB54_56
.LBB54_55:                              ;   in Loop: Header=BB54_56 Depth=1
	s_waitcnt lgkmcnt(0)
	v_add_co_u32_e32 v2, vcc, s26, v2
	v_addc_co_u32_e32 v3, vcc, 0, v3, vcc
	v_add_co_u32_e32 v0, vcc, 0x100, v0
	v_lshlrev_b64 v[4:5], 3, v[4:5]
	v_addc_co_u32_e32 v1, vcc, 0, v1, vcc
	v_cmp_le_i64_e32 vcc, s[4:5], v[0:1]
	v_mov_b32_e32 v6, s35
	v_add_co_u32_e64 v4, s[2:3], s34, v4
	v_addc_co_u32_e64 v5, s[2:3], v6, v5, s[2:3]
	s_or_b64 s[12:13], vcc, s[12:13]
	global_store_dwordx2 v[4:5], v[2:3], off
	s_andn2_b64 exec, exec, s[12:13]
	s_cbranch_execz .LBB54_63
.LBB54_56:                              ; =>This Loop Header: Depth=1
                                        ;     Child Loop BB54_58 Depth 2
                                        ;     Child Loop BB54_62 Depth 2
	v_lshl_add_u32 v2, v0, 3, 0
	ds_read_b64 v[2:3], v2
	v_mov_b32_e32 v4, s8
	s_and_b64 vcc, exec, s[0:1]
	v_mov_b32_e32 v5, s9
	s_mov_b64 s[2:3], 0
	s_cbranch_vccnz .LBB54_60
; %bb.57:                               ;   in Loop: Header=BB54_56 Depth=1
	v_mov_b32_e32 v4, s8
	s_mov_b64 s[16:17], 0
	s_mov_b32 s18, 0
	v_mov_b32_e32 v5, s9
.LBB54_58:                              ;   Parent Loop BB54_56 Depth=1
                                        ; =>  This Inner Loop Header: Depth=2
	v_mov_b32_e32 v18, s18
	ds_read2_b64 v[6:9], v18 offset1:1
	ds_read2_b64 v[10:13], v18 offset0:2 offset1:3
	ds_read2_b64 v[14:17], v18 offset0:4 offset1:5
	;; [unrolled: 1-line block ×3, first 2 shown]
	s_add_u32 s16, s16, 8
	s_waitcnt lgkmcnt(3)
	v_cmp_gt_i64_e32 vcc, v[2:3], v[8:9]
	v_cmp_gt_i64_e64 s[2:3], v[2:3], v[6:7]
	v_cndmask_b32_e64 v7, 0, 1, vcc
	s_waitcnt lgkmcnt(2)
	v_cmp_gt_i64_e32 vcc, v[2:3], v[10:11]
	v_cndmask_b32_e64 v6, 0, 1, s[2:3]
	v_cndmask_b32_e64 v8, 0, 1, vcc
	v_cmp_gt_i64_e32 vcc, v[2:3], v[12:13]
	s_addc_u32 s17, s17, 0
	v_cndmask_b32_e64 v9, 0, 1, vcc
	s_waitcnt lgkmcnt(1)
	v_cmp_gt_i64_e32 vcc, v[2:3], v[14:15]
	s_add_i32 s18, s18, 64
	v_cndmask_b32_e64 v10, 0, 1, vcc
	v_cmp_gt_i64_e32 vcc, v[2:3], v[16:17]
	s_cmp_eq_u64 s[10:11], s[16:17]
	v_cndmask_b32_e64 v11, 0, 1, vcc
	s_waitcnt lgkmcnt(0)
	v_cmp_gt_i64_e32 vcc, v[2:3], v[18:19]
	v_cndmask_b32_e64 v12, 0, 1, vcc
	v_cmp_gt_i64_e32 vcc, v[2:3], v[20:21]
	v_cndmask_b32_e64 v13, 0, 1, vcc
	v_add_co_u32_e32 v4, vcc, v4, v6
	v_addc_co_u32_e32 v5, vcc, 0, v5, vcc
	v_add_co_u32_e32 v4, vcc, v4, v7
	v_addc_co_u32_e32 v5, vcc, 0, v5, vcc
	;; [unrolled: 2-line block ×8, first 2 shown]
	s_cbranch_scc0 .LBB54_58
; %bb.59:                               ;   in Loop: Header=BB54_56 Depth=1
	s_mov_b64 s[2:3], s[10:11]
.LBB54_60:                              ;   in Loop: Header=BB54_56 Depth=1
	s_andn2_b64 vcc, exec, s[14:15]
	s_cbranch_vccnz .LBB54_55
; %bb.61:                               ;   in Loop: Header=BB54_56 Depth=1
	s_lshl_b32 s2, s2, 3
	s_add_i32 s16, s2, 0
	s_mov_b64 s[2:3], s[6:7]
.LBB54_62:                              ;   Parent Loop BB54_56 Depth=1
                                        ; =>  This Inner Loop Header: Depth=2
	v_mov_b32_e32 v6, s16
	ds_read_b64 v[6:7], v6
	s_add_i32 s16, s16, 8
	s_add_u32 s2, s2, -1
	s_addc_u32 s3, s3, -1
	s_cmp_lg_u64 s[2:3], 0
	s_waitcnt lgkmcnt(0)
	v_cmp_gt_i64_e32 vcc, v[2:3], v[6:7]
	v_cndmask_b32_e64 v6, 0, 1, vcc
	v_add_co_u32_e32 v4, vcc, v4, v6
	v_addc_co_u32_e32 v5, vcc, 0, v5, vcc
	s_cbranch_scc1 .LBB54_62
	s_branch .LBB54_55
.LBB54_63:
	s_endpgm
	.section	.rodata,"a",@progbits
	.p2align	6, 0x0
	.amdhsa_kernel _ZN9rocsparseL35csrgemm_symbolic_fill_block_per_rowILj256ELj32ELj512ELj137ELj32EllEEvT5_PKS1_S3_PKT4_S3_S6_S3_S6_S3_S6_PS1_21rocsparse_index_base_S8_S8_S8_bb
		.amdhsa_group_segment_fixed_size 0
		.amdhsa_private_segment_fixed_size 0
		.amdhsa_kernarg_size 108
		.amdhsa_user_sgpr_count 6
		.amdhsa_user_sgpr_private_segment_buffer 1
		.amdhsa_user_sgpr_dispatch_ptr 0
		.amdhsa_user_sgpr_queue_ptr 0
		.amdhsa_user_sgpr_kernarg_segment_ptr 1
		.amdhsa_user_sgpr_dispatch_id 0
		.amdhsa_user_sgpr_flat_scratch_init 0
		.amdhsa_user_sgpr_private_segment_size 0
		.amdhsa_uses_dynamic_stack 0
		.amdhsa_system_sgpr_private_segment_wavefront_offset 0
		.amdhsa_system_sgpr_workgroup_id_x 1
		.amdhsa_system_sgpr_workgroup_id_y 0
		.amdhsa_system_sgpr_workgroup_id_z 0
		.amdhsa_system_sgpr_workgroup_info 0
		.amdhsa_system_vgpr_workitem_id 0
		.amdhsa_next_free_vgpr 22
		.amdhsa_next_free_sgpr 47
		.amdhsa_reserve_vcc 1
		.amdhsa_reserve_flat_scratch 0
		.amdhsa_float_round_mode_32 0
		.amdhsa_float_round_mode_16_64 0
		.amdhsa_float_denorm_mode_32 3
		.amdhsa_float_denorm_mode_16_64 3
		.amdhsa_dx10_clamp 1
		.amdhsa_ieee_mode 1
		.amdhsa_fp16_overflow 0
		.amdhsa_exception_fp_ieee_invalid_op 0
		.amdhsa_exception_fp_denorm_src 0
		.amdhsa_exception_fp_ieee_div_zero 0
		.amdhsa_exception_fp_ieee_overflow 0
		.amdhsa_exception_fp_ieee_underflow 0
		.amdhsa_exception_fp_ieee_inexact 0
		.amdhsa_exception_int_div_zero 0
	.end_amdhsa_kernel
	.section	.text._ZN9rocsparseL35csrgemm_symbolic_fill_block_per_rowILj256ELj32ELj512ELj137ELj32EllEEvT5_PKS1_S3_PKT4_S3_S6_S3_S6_S3_S6_PS1_21rocsparse_index_base_S8_S8_S8_bb,"axG",@progbits,_ZN9rocsparseL35csrgemm_symbolic_fill_block_per_rowILj256ELj32ELj512ELj137ELj32EllEEvT5_PKS1_S3_PKT4_S3_S6_S3_S6_S3_S6_PS1_21rocsparse_index_base_S8_S8_S8_bb,comdat
.Lfunc_end54:
	.size	_ZN9rocsparseL35csrgemm_symbolic_fill_block_per_rowILj256ELj32ELj512ELj137ELj32EllEEvT5_PKS1_S3_PKT4_S3_S6_S3_S6_S3_S6_PS1_21rocsparse_index_base_S8_S8_S8_bb, .Lfunc_end54-_ZN9rocsparseL35csrgemm_symbolic_fill_block_per_rowILj256ELj32ELj512ELj137ELj32EllEEvT5_PKS1_S3_PKT4_S3_S6_S3_S6_S3_S6_PS1_21rocsparse_index_base_S8_S8_S8_bb
                                        ; -- End function
	.set _ZN9rocsparseL35csrgemm_symbolic_fill_block_per_rowILj256ELj32ELj512ELj137ELj32EllEEvT5_PKS1_S3_PKT4_S3_S6_S3_S6_S3_S6_PS1_21rocsparse_index_base_S8_S8_S8_bb.num_vgpr, 22
	.set _ZN9rocsparseL35csrgemm_symbolic_fill_block_per_rowILj256ELj32ELj512ELj137ELj32EllEEvT5_PKS1_S3_PKT4_S3_S6_S3_S6_S3_S6_PS1_21rocsparse_index_base_S8_S8_S8_bb.num_agpr, 0
	.set _ZN9rocsparseL35csrgemm_symbolic_fill_block_per_rowILj256ELj32ELj512ELj137ELj32EllEEvT5_PKS1_S3_PKT4_S3_S6_S3_S6_S3_S6_PS1_21rocsparse_index_base_S8_S8_S8_bb.numbered_sgpr, 47
	.set _ZN9rocsparseL35csrgemm_symbolic_fill_block_per_rowILj256ELj32ELj512ELj137ELj32EllEEvT5_PKS1_S3_PKT4_S3_S6_S3_S6_S3_S6_PS1_21rocsparse_index_base_S8_S8_S8_bb.num_named_barrier, 0
	.set _ZN9rocsparseL35csrgemm_symbolic_fill_block_per_rowILj256ELj32ELj512ELj137ELj32EllEEvT5_PKS1_S3_PKT4_S3_S6_S3_S6_S3_S6_PS1_21rocsparse_index_base_S8_S8_S8_bb.private_seg_size, 0
	.set _ZN9rocsparseL35csrgemm_symbolic_fill_block_per_rowILj256ELj32ELj512ELj137ELj32EllEEvT5_PKS1_S3_PKT4_S3_S6_S3_S6_S3_S6_PS1_21rocsparse_index_base_S8_S8_S8_bb.uses_vcc, 1
	.set _ZN9rocsparseL35csrgemm_symbolic_fill_block_per_rowILj256ELj32ELj512ELj137ELj32EllEEvT5_PKS1_S3_PKT4_S3_S6_S3_S6_S3_S6_PS1_21rocsparse_index_base_S8_S8_S8_bb.uses_flat_scratch, 0
	.set _ZN9rocsparseL35csrgemm_symbolic_fill_block_per_rowILj256ELj32ELj512ELj137ELj32EllEEvT5_PKS1_S3_PKT4_S3_S6_S3_S6_S3_S6_PS1_21rocsparse_index_base_S8_S8_S8_bb.has_dyn_sized_stack, 0
	.set _ZN9rocsparseL35csrgemm_symbolic_fill_block_per_rowILj256ELj32ELj512ELj137ELj32EllEEvT5_PKS1_S3_PKT4_S3_S6_S3_S6_S3_S6_PS1_21rocsparse_index_base_S8_S8_S8_bb.has_recursion, 0
	.set _ZN9rocsparseL35csrgemm_symbolic_fill_block_per_rowILj256ELj32ELj512ELj137ELj32EllEEvT5_PKS1_S3_PKT4_S3_S6_S3_S6_S3_S6_PS1_21rocsparse_index_base_S8_S8_S8_bb.has_indirect_call, 0
	.section	.AMDGPU.csdata,"",@progbits
; Kernel info:
; codeLenInByte = 2312
; TotalNumSgprs: 51
; NumVgprs: 22
; ScratchSize: 0
; MemoryBound: 0
; FloatMode: 240
; IeeeMode: 1
; LDSByteSize: 0 bytes/workgroup (compile time only)
; SGPRBlocks: 6
; VGPRBlocks: 5
; NumSGPRsForWavesPerEU: 51
; NumVGPRsForWavesPerEU: 22
; Occupancy: 10
; WaveLimiterHint : 1
; COMPUTE_PGM_RSRC2:SCRATCH_EN: 0
; COMPUTE_PGM_RSRC2:USER_SGPR: 6
; COMPUTE_PGM_RSRC2:TRAP_HANDLER: 0
; COMPUTE_PGM_RSRC2:TGID_X_EN: 1
; COMPUTE_PGM_RSRC2:TGID_Y_EN: 0
; COMPUTE_PGM_RSRC2:TGID_Z_EN: 0
; COMPUTE_PGM_RSRC2:TIDIG_COMP_CNT: 0
	.section	.text._ZN9rocsparseL35csrgemm_symbolic_fill_block_per_rowILj256ELj32ELj512ELj137ELj64EllEEvT5_PKS1_S3_PKT4_S3_S6_S3_S6_S3_S6_PS1_21rocsparse_index_base_S8_S8_S8_bb,"axG",@progbits,_ZN9rocsparseL35csrgemm_symbolic_fill_block_per_rowILj256ELj32ELj512ELj137ELj64EllEEvT5_PKS1_S3_PKT4_S3_S6_S3_S6_S3_S6_PS1_21rocsparse_index_base_S8_S8_S8_bb,comdat
	.globl	_ZN9rocsparseL35csrgemm_symbolic_fill_block_per_rowILj256ELj32ELj512ELj137ELj64EllEEvT5_PKS1_S3_PKT4_S3_S6_S3_S6_S3_S6_PS1_21rocsparse_index_base_S8_S8_S8_bb ; -- Begin function _ZN9rocsparseL35csrgemm_symbolic_fill_block_per_rowILj256ELj32ELj512ELj137ELj64EllEEvT5_PKS1_S3_PKT4_S3_S6_S3_S6_S3_S6_PS1_21rocsparse_index_base_S8_S8_S8_bb
	.p2align	8
	.type	_ZN9rocsparseL35csrgemm_symbolic_fill_block_per_rowILj256ELj32ELj512ELj137ELj64EllEEvT5_PKS1_S3_PKT4_S3_S6_S3_S6_S3_S6_PS1_21rocsparse_index_base_S8_S8_S8_bb,@function
_ZN9rocsparseL35csrgemm_symbolic_fill_block_per_rowILj256ELj32ELj512ELj137ELj64EllEEvT5_PKS1_S3_PKT4_S3_S6_S3_S6_S3_S6_PS1_21rocsparse_index_base_S8_S8_S8_bb: ; @_ZN9rocsparseL35csrgemm_symbolic_fill_block_per_rowILj256ELj32ELj512ELj137ELj64EllEEvT5_PKS1_S3_PKT4_S3_S6_S3_S6_S3_S6_PS1_21rocsparse_index_base_S8_S8_S8_bb
; %bb.0:
	s_load_dwordx2 s[34:35], s[4:5], 0x50
	s_load_dwordx4 s[28:31], s[4:5], 0x40
	s_load_dwordx8 s[8:15], s[4:5], 0x0
	s_load_dwordx8 s[16:23], s[4:5], 0x20
	s_movk_i32 s0, 0x200
	v_cmp_gt_u32_e64 s[0:1], s0, v0
	v_lshl_add_u32 v11, v0, 3, 0
	s_and_saveexec_b64 s[2:3], s[0:1]
	s_cbranch_execz .LBB55_3
; %bb.1:
	s_waitcnt lgkmcnt(0)
	v_mov_b32_e32 v1, s8
	v_or_b32_e32 v3, 0xffffff00, v0
	v_lshl_add_u32 v4, v0, 3, 0
	s_mov_b64 s[24:25], 0
	v_mov_b32_e32 v2, s9
.LBB55_2:                               ; =>This Inner Loop Header: Depth=1
	v_add_co_u32_e32 v3, vcc, 0x100, v3
	s_xor_b64 s[26:27], vcc, -1
	s_and_b64 s[26:27], exec, s[26:27]
	ds_write_b64 v4, v[1:2]
	s_or_b64 s[24:25], s[26:27], s[24:25]
	v_add_u32_e32 v4, 0x800, v4
	s_andn2_b64 exec, exec, s[24:25]
	s_cbranch_execnz .LBB55_2
.LBB55_3:
	s_or_b64 exec, exec, s[2:3]
	s_load_dword s33, s[4:5], 0x68
	s_waitcnt lgkmcnt(0)
	s_barrier
	s_load_dwordx2 s[2:3], s[10:11], 0x0
	s_load_dwordx4 s[24:27], s[4:5], 0x58
	s_bitcmp1_b32 s33, 0
	s_cselect_b64 s[4:5], -1, 0
	s_mov_b32 s7, 0
	s_waitcnt lgkmcnt(0)
	s_lshl_b64 s[2:3], s[2:3], 3
	s_add_u32 s10, s12, s2
	s_addc_u32 s11, s13, s3
	s_lshl_b64 s[2:3], s[6:7], 3
	s_add_u32 s2, s10, s2
	s_addc_u32 s3, s11, s3
	s_load_dwordx2 s[10:11], s[2:3], 0x0
	s_and_b64 vcc, exec, s[4:5]
	s_cbranch_vccz .LBB55_19
; %bb.4:
	s_waitcnt lgkmcnt(0)
	s_lshl_b64 s[2:3], s[10:11], 3
	s_add_u32 s2, s14, s2
	s_addc_u32 s3, s15, s3
	s_load_dwordx4 s[4:7], s[2:3], 0x0
	v_lshrrev_b32_e32 v1, 5, v0
	v_subrev_co_u32_e32 v1, vcc, s24, v1
	s_waitcnt lgkmcnt(0)
	s_sub_u32 s2, s6, s24
	s_subb_u32 s3, s7, 0
	v_subb_co_u32_e64 v2, s[6:7], 0, 0, vcc
	v_mov_b32_e32 v3, s5
	v_add_co_u32_e32 v1, vcc, s4, v1
	v_addc_co_u32_e32 v2, vcc, v3, v2, vcc
	v_cmp_gt_i64_e32 vcc, s[2:3], v[1:2]
	s_and_saveexec_b64 s[4:5], vcc
	s_cbranch_execz .LBB55_18
; %bb.5:
	v_and_b32_e32 v3, 31, v0
	v_subrev_co_u32_e32 v12, vcc, s25, v3
	v_subb_co_u32_e64 v13, s[6:7], 0, 0, vcc
	s_mov_b32 s46, s25
	s_mov_b64 s[6:7], 0
	v_mov_b32_e32 v14, s17
	v_mov_b32_e32 v15, s19
	s_movk_i32 s17, 0x89
	s_branch .LBB55_7
.LBB55_6:                               ;   in Loop: Header=BB55_7 Depth=1
	s_or_b64 exec, exec, s[12:13]
	v_add_co_u32_e32 v1, vcc, 8, v1
	v_addc_co_u32_e32 v2, vcc, 0, v2, vcc
	v_cmp_le_i64_e32 vcc, s[2:3], v[1:2]
	s_or_b64 s[6:7], vcc, s[6:7]
	s_andn2_b64 exec, exec, s[6:7]
	s_cbranch_execz .LBB55_18
.LBB55_7:                               ; =>This Loop Header: Depth=1
                                        ;     Child Loop BB55_10 Depth 2
                                        ;       Child Loop BB55_13 Depth 3
	v_lshlrev_b64 v[3:4], 3, v[1:2]
	v_add_co_u32_e32 v3, vcc, s16, v3
	v_addc_co_u32_e32 v4, vcc, v14, v4, vcc
	global_load_dwordx2 v[3:4], v[3:4], off
	s_waitcnt vmcnt(0)
	v_subrev_co_u32_e32 v3, vcc, s24, v3
	v_subbrev_co_u32_e32 v4, vcc, 0, v4, vcc
	v_lshlrev_b64 v[3:4], 3, v[3:4]
	v_add_co_u32_e32 v3, vcc, s18, v3
	v_addc_co_u32_e32 v4, vcc, v15, v4, vcc
	global_load_dwordx4 v[5:8], v[3:4], off
	s_waitcnt vmcnt(0)
	v_subrev_co_u32_e32 v3, vcc, s46, v7
	v_subbrev_co_u32_e32 v4, vcc, 0, v8, vcc
	v_add_co_u32_e32 v5, vcc, v5, v12
	v_addc_co_u32_e32 v6, vcc, v6, v13, vcc
	v_cmp_lt_i64_e32 vcc, v[5:6], v[3:4]
	s_and_saveexec_b64 s[12:13], vcc
	s_cbranch_execz .LBB55_6
; %bb.8:                                ;   in Loop: Header=BB55_7 Depth=1
	s_mov_b64 s[14:15], 0
	s_branch .LBB55_10
.LBB55_9:                               ;   in Loop: Header=BB55_10 Depth=2
	s_or_b64 exec, exec, s[36:37]
	v_add_co_u32_e32 v5, vcc, 32, v5
	v_addc_co_u32_e32 v6, vcc, 0, v6, vcc
	v_cmp_ge_i64_e32 vcc, v[5:6], v[3:4]
	s_or_b64 s[14:15], vcc, s[14:15]
	s_andn2_b64 exec, exec, s[14:15]
	s_cbranch_execz .LBB55_6
.LBB55_10:                              ;   Parent Loop BB55_7 Depth=1
                                        ; =>  This Loop Header: Depth=2
                                        ;       Child Loop BB55_13 Depth 3
	v_lshlrev_b64 v[7:8], 3, v[5:6]
	v_mov_b32_e32 v9, s21
	v_add_co_u32_e32 v7, vcc, s20, v7
	v_addc_co_u32_e32 v8, vcc, v9, v8, vcc
	global_load_dwordx2 v[7:8], v[7:8], off
	s_mov_b64 s[36:37], 0
                                        ; implicit-def: $sgpr38_sgpr39
	s_waitcnt vmcnt(0)
	v_subrev_co_u32_e32 v7, vcc, s46, v7
	v_mul_lo_u32 v9, v7, s17
	v_subbrev_co_u32_e32 v8, vcc, 0, v8, vcc
	v_and_b32_e32 v16, 0x1ff, v9
	s_branch .LBB55_13
.LBB55_11:                              ;   in Loop: Header=BB55_13 Depth=3
	s_or_b64 exec, exec, s[42:43]
	s_andn2_b64 s[38:39], s[38:39], exec
	s_and_b64 s[42:43], s[44:45], exec
	s_or_b64 s[38:39], s[38:39], s[42:43]
.LBB55_12:                              ;   in Loop: Header=BB55_13 Depth=3
	s_or_b64 exec, exec, s[40:41]
	s_xor_b64 s[40:41], s[38:39], -1
	s_and_b64 s[40:41], exec, s[40:41]
	s_or_b64 s[36:37], s[40:41], s[36:37]
	s_andn2_b64 exec, exec, s[36:37]
	s_cbranch_execz .LBB55_9
.LBB55_13:                              ;   Parent Loop BB55_7 Depth=1
                                        ;     Parent Loop BB55_10 Depth=2
                                        ; =>    This Inner Loop Header: Depth=3
	v_lshl_add_u32 v17, v16, 3, 0
	ds_read_b64 v[9:10], v17
	s_andn2_b64 s[38:39], s[38:39], exec
	s_waitcnt lgkmcnt(0)
	v_cmp_ne_u64_e32 vcc, v[9:10], v[7:8]
	s_and_saveexec_b64 s[40:41], vcc
	s_cbranch_execz .LBB55_12
; %bb.14:                               ;   in Loop: Header=BB55_13 Depth=3
	v_cmp_ne_u64_e32 vcc, s[8:9], v[9:10]
	s_and_saveexec_b64 s[42:43], vcc
	s_xor_b64 s[42:43], exec, s[42:43]
; %bb.15:                               ;   in Loop: Header=BB55_13 Depth=3
	v_add_u32_e32 v9, 1, v16
	v_and_b32_e32 v16, 0x1ff, v9
                                        ; implicit-def: $vgpr17
; %bb.16:                               ;   in Loop: Header=BB55_13 Depth=3
	s_or_saveexec_b64 s[42:43], s[42:43]
	s_mov_b64 s[44:45], -1
	s_xor_b64 exec, exec, s[42:43]
	s_cbranch_execz .LBB55_11
; %bb.17:                               ;   in Loop: Header=BB55_13 Depth=3
	v_mov_b32_e32 v10, s9
	v_mov_b32_e32 v9, s8
	ds_cmpst_rtn_b64 v[9:10], v17, v[9:10], v[7:8]
	s_waitcnt lgkmcnt(0)
	v_cmp_ne_u64_e32 vcc, s[8:9], v[9:10]
	s_orn2_b64 s[44:45], vcc, exec
	s_branch .LBB55_11
.LBB55_18:
	s_or_b64 exec, exec, s[4:5]
.LBB55_19:
	s_bfe_u32 s2, s33, 0x10008
	s_cmp_eq_u32 s2, 0
	s_cbranch_scc1 .LBB55_32
; %bb.20:
	s_waitcnt lgkmcnt(0)
	s_lshl_b64 s[2:3], s[10:11], 3
	s_add_u32 s2, s22, s2
	s_addc_u32 s3, s23, s3
	s_load_dwordx4 s[4:7], s[2:3], 0x0
	v_subrev_co_u32_e32 v1, vcc, s27, v0
	v_subb_co_u32_e64 v2, s[2:3], 0, 0, vcc
	s_waitcnt lgkmcnt(0)
	s_sub_u32 s2, s6, s27
	v_mov_b32_e32 v3, s5
	v_add_co_u32_e32 v1, vcc, s4, v1
	s_subb_u32 s3, s7, 0
	v_addc_co_u32_e32 v2, vcc, v3, v2, vcc
	v_cmp_gt_i64_e32 vcc, s[2:3], v[1:2]
	s_and_saveexec_b64 s[4:5], vcc
	s_cbranch_execz .LBB55_31
; %bb.21:
	s_mov_b32 s22, s27
	s_mov_b64 s[6:7], 0
	v_mov_b32_e32 v7, s29
	s_movk_i32 s23, 0x89
	s_branch .LBB55_23
.LBB55_22:                              ;   in Loop: Header=BB55_23 Depth=1
	s_or_b64 exec, exec, s[12:13]
	v_add_co_u32_e32 v1, vcc, 0x100, v1
	v_addc_co_u32_e32 v2, vcc, 0, v2, vcc
	v_cmp_le_i64_e32 vcc, s[2:3], v[1:2]
	s_or_b64 s[6:7], vcc, s[6:7]
	s_andn2_b64 exec, exec, s[6:7]
	s_cbranch_execz .LBB55_31
.LBB55_23:                              ; =>This Loop Header: Depth=1
                                        ;     Child Loop BB55_26 Depth 2
	v_lshlrev_b64 v[3:4], 3, v[1:2]
	s_mov_b64 s[12:13], 0
	v_add_co_u32_e32 v3, vcc, s28, v3
	v_addc_co_u32_e32 v4, vcc, v7, v4, vcc
	global_load_dwordx2 v[3:4], v[3:4], off
                                        ; implicit-def: $sgpr14_sgpr15
	s_waitcnt vmcnt(0)
	v_subrev_co_u32_e32 v3, vcc, s22, v3
	v_mul_lo_u32 v5, v3, s23
	v_subbrev_co_u32_e32 v4, vcc, 0, v4, vcc
	v_and_b32_e32 v8, 0x1ff, v5
	s_branch .LBB55_26
.LBB55_24:                              ;   in Loop: Header=BB55_26 Depth=2
	s_or_b64 exec, exec, s[18:19]
	s_andn2_b64 s[14:15], s[14:15], exec
	s_and_b64 s[18:19], s[20:21], exec
	s_or_b64 s[14:15], s[14:15], s[18:19]
.LBB55_25:                              ;   in Loop: Header=BB55_26 Depth=2
	s_or_b64 exec, exec, s[16:17]
	s_xor_b64 s[16:17], s[14:15], -1
	s_and_b64 s[16:17], exec, s[16:17]
	s_or_b64 s[12:13], s[16:17], s[12:13]
	s_andn2_b64 exec, exec, s[12:13]
	s_cbranch_execz .LBB55_22
.LBB55_26:                              ;   Parent Loop BB55_23 Depth=1
                                        ; =>  This Inner Loop Header: Depth=2
	v_lshl_add_u32 v9, v8, 3, 0
	ds_read_b64 v[5:6], v9
	s_andn2_b64 s[14:15], s[14:15], exec
	s_waitcnt lgkmcnt(0)
	v_cmp_ne_u64_e32 vcc, v[5:6], v[3:4]
	s_and_saveexec_b64 s[16:17], vcc
	s_cbranch_execz .LBB55_25
; %bb.27:                               ;   in Loop: Header=BB55_26 Depth=2
	v_cmp_ne_u64_e32 vcc, s[8:9], v[5:6]
	s_and_saveexec_b64 s[18:19], vcc
	s_xor_b64 s[18:19], exec, s[18:19]
; %bb.28:                               ;   in Loop: Header=BB55_26 Depth=2
	v_add_u32_e32 v5, 1, v8
	v_and_b32_e32 v8, 0x1ff, v5
                                        ; implicit-def: $vgpr9
; %bb.29:                               ;   in Loop: Header=BB55_26 Depth=2
	s_or_saveexec_b64 s[18:19], s[18:19]
	s_mov_b64 s[20:21], -1
	s_xor_b64 exec, exec, s[18:19]
	s_cbranch_execz .LBB55_24
; %bb.30:                               ;   in Loop: Header=BB55_26 Depth=2
	v_mov_b32_e32 v5, s8
	v_mov_b32_e32 v6, s9
	ds_cmpst_rtn_b64 v[5:6], v9, v[5:6], v[3:4]
	s_waitcnt lgkmcnt(0)
	v_cmp_ne_u64_e32 vcc, s[8:9], v[5:6]
	s_orn2_b64 s[20:21], vcc, exec
	s_branch .LBB55_24
.LBB55_31:
	s_or_b64 exec, exec, s[4:5]
.LBB55_32:
	s_waitcnt lgkmcnt(0)
	s_barrier
	s_and_saveexec_b64 s[12:13], s[0:1]
	s_cbranch_execz .LBB55_45
; %bb.33:
	v_mbcnt_lo_u32_b32 v1, -1, 0
	v_mbcnt_hi_u32_b32 v1, -1, v1
	v_sub_u32_e32 v1, 63, v1
	v_lshrrev_b64 v[3:4], v1, -1
	v_lshrrev_b32_e32 v1, 3, v0
	v_and_b32_e32 v1, 24, v1
	s_movk_i32 s0, 0xff
	s_movk_i32 s4, 0x7f
	;; [unrolled: 1-line block ×3, first 2 shown]
	v_mov_b32_e32 v5, 0
	v_mov_b32_e32 v2, 0
	v_add_u32_e32 v12, 0, v1
	v_cmp_eq_u32_e64 s[0:1], s0, v0
	v_cmp_lt_u32_e64 s[2:3], 63, v0
	v_cmp_lt_u32_e64 s[4:5], s4, v0
	;; [unrolled: 1-line block ×3, first 2 shown]
	v_or_b32_e32 v13, 0xffffff00, v0
	v_mov_b32_e32 v6, 0
	s_mov_b64 s[14:15], 0
	s_branch .LBB55_35
.LBB55_34:                              ;   in Loop: Header=BB55_35 Depth=1
	s_or_b64 exec, exec, s[16:17]
	s_waitcnt lgkmcnt(0)
	s_barrier
	ds_read_b64 v[7:8], v2 offset:4120
	v_add_u32_e32 v11, 0x800, v11
	s_waitcnt lgkmcnt(0)
	v_add_co_u32_e32 v5, vcc, v7, v5
	v_addc_co_u32_e32 v6, vcc, v8, v6, vcc
	v_add_co_u32_e32 v13, vcc, 0x100, v13
	s_xor_b64 s[16:17], vcc, -1
	s_and_b64 s[16:17], exec, s[16:17]
	s_or_b64 s[14:15], s[16:17], s[14:15]
	s_andn2_b64 exec, exec, s[14:15]
	s_cbranch_execz .LBB55_45
.LBB55_35:                              ; =>This Inner Loop Header: Depth=1
	ds_read_b64 v[7:8], v11
	s_waitcnt lgkmcnt(0)
	s_barrier
	v_cmp_gt_i64_e32 vcc, s[8:9], v[7:8]
	v_and_b32_e32 v10, vcc_lo, v3
	s_bcnt1_i32_b64 s16, vcc
	v_and_b32_e32 v9, vcc_hi, v4
	v_bcnt_u32_b32 v10, v10, 0
	v_mov_b32_e32 v1, s16
	v_bcnt_u32_b32 v9, v9, v10
	ds_write_b64 v12, v[1:2] offset:4096
	s_waitcnt lgkmcnt(0)
	s_barrier
	s_and_saveexec_b64 s[16:17], s[2:3]
	s_cbranch_execnz .LBB55_40
; %bb.36:                               ;   in Loop: Header=BB55_35 Depth=1
	s_or_b64 exec, exec, s[16:17]
	s_and_saveexec_b64 s[16:17], s[4:5]
	s_cbranch_execnz .LBB55_41
.LBB55_37:                              ;   in Loop: Header=BB55_35 Depth=1
	s_or_b64 exec, exec, s[16:17]
	s_and_saveexec_b64 s[16:17], s[6:7]
	s_cbranch_execnz .LBB55_42
.LBB55_38:                              ;   in Loop: Header=BB55_35 Depth=1
	s_or_b64 exec, exec, s[16:17]
	v_ashrrev_i32_e32 v10, 31, v9
	s_and_saveexec_b64 s[16:17], vcc
	s_cbranch_execnz .LBB55_43
.LBB55_39:                              ;   in Loop: Header=BB55_35 Depth=1
	s_or_b64 exec, exec, s[16:17]
	s_and_saveexec_b64 s[16:17], s[0:1]
	s_cbranch_execz .LBB55_34
	s_branch .LBB55_44
.LBB55_40:                              ;   in Loop: Header=BB55_35 Depth=1
	ds_read_b32 v1, v2 offset:4096
	s_waitcnt lgkmcnt(0)
	v_add_u32_e32 v9, v1, v9
	s_or_b64 exec, exec, s[16:17]
	s_and_saveexec_b64 s[16:17], s[4:5]
	s_cbranch_execz .LBB55_37
.LBB55_41:                              ;   in Loop: Header=BB55_35 Depth=1
	ds_read_b32 v1, v2 offset:4104
	s_waitcnt lgkmcnt(0)
	v_add_u32_e32 v9, v9, v1
	s_or_b64 exec, exec, s[16:17]
	s_and_saveexec_b64 s[16:17], s[6:7]
	s_cbranch_execz .LBB55_38
.LBB55_42:                              ;   in Loop: Header=BB55_35 Depth=1
	ds_read_b32 v1, v2 offset:4112
	s_waitcnt lgkmcnt(0)
	v_add_u32_e32 v9, v9, v1
	s_or_b64 exec, exec, s[16:17]
	v_ashrrev_i32_e32 v10, 31, v9
	s_and_saveexec_b64 s[16:17], vcc
	s_cbranch_execz .LBB55_39
.LBB55_43:                              ;   in Loop: Header=BB55_35 Depth=1
	v_lshlrev_b32_e32 v1, 3, v5
	v_add_u32_e32 v1, 0, v1
	v_lshlrev_b32_e32 v14, 3, v9
	v_add3_u32 v1, v1, v14, -8
	ds_write_b64 v1, v[7:8]
	s_or_b64 exec, exec, s[16:17]
	s_and_saveexec_b64 s[16:17], s[0:1]
	s_cbranch_execz .LBB55_34
.LBB55_44:                              ;   in Loop: Header=BB55_35 Depth=1
	ds_write_b64 v2, v[9:10] offset:4120
	s_branch .LBB55_34
.LBB55_45:
	s_or_b64 exec, exec, s[12:13]
	s_lshl_b64 s[0:1], s[10:11], 3
	s_add_u32 s4, s30, s0
	s_addc_u32 s5, s31, s1
	s_load_dwordx4 s[0:3], s[4:5], 0x0
	v_mov_b32_e32 v1, 0
	s_waitcnt lgkmcnt(0)
	s_sub_u32 s4, s2, s0
	s_subb_u32 s5, s3, s1
	v_cmp_gt_i64_e32 vcc, s[4:5], v[0:1]
	s_and_saveexec_b64 s[6:7], vcc
	s_cbranch_execz .LBB55_55
; %bb.46:
	s_sub_u32 s8, s0, s26
	s_subb_u32 s9, s1, 0
	s_and_b32 s6, s4, 7
	s_sub_u32 s0, s0, s2
	s_subb_u32 s1, s1, s3
	v_cmp_lt_u64_e64 s[0:1], s[0:1], -7
	s_mov_b32 s7, 0
	s_and_b32 s10, s4, -8
	s_cmp_lg_u64 s[6:7], 0
	v_cndmask_b32_e64 v2, 0, 1, s[0:1]
	s_mov_b32 s11, s5
	s_mov_b64 s[12:13], 0
	s_cselect_b64 s[14:15], -1, 0
	v_cmp_ne_u32_e64 s[0:1], 1, v2
	s_branch .LBB55_48
.LBB55_47:                              ;   in Loop: Header=BB55_48 Depth=1
	s_waitcnt lgkmcnt(0)
	v_add_co_u32_e32 v2, vcc, s26, v2
	v_addc_co_u32_e32 v3, vcc, 0, v3, vcc
	v_add_co_u32_e32 v0, vcc, 0x100, v0
	v_lshlrev_b64 v[4:5], 3, v[4:5]
	v_addc_co_u32_e32 v1, vcc, 0, v1, vcc
	v_cmp_le_i64_e32 vcc, s[4:5], v[0:1]
	v_mov_b32_e32 v6, s35
	v_add_co_u32_e64 v4, s[2:3], s34, v4
	v_addc_co_u32_e64 v5, s[2:3], v6, v5, s[2:3]
	s_or_b64 s[12:13], vcc, s[12:13]
	global_store_dwordx2 v[4:5], v[2:3], off
	s_andn2_b64 exec, exec, s[12:13]
	s_cbranch_execz .LBB55_55
.LBB55_48:                              ; =>This Loop Header: Depth=1
                                        ;     Child Loop BB55_50 Depth 2
                                        ;     Child Loop BB55_54 Depth 2
	v_lshl_add_u32 v2, v0, 3, 0
	ds_read_b64 v[2:3], v2
	v_mov_b32_e32 v4, s8
	s_and_b64 vcc, exec, s[0:1]
	v_mov_b32_e32 v5, s9
	s_mov_b64 s[2:3], 0
	s_cbranch_vccnz .LBB55_52
; %bb.49:                               ;   in Loop: Header=BB55_48 Depth=1
	v_mov_b32_e32 v4, s8
	s_mov_b64 s[16:17], 0
	s_mov_b32 s18, 0
	v_mov_b32_e32 v5, s9
.LBB55_50:                              ;   Parent Loop BB55_48 Depth=1
                                        ; =>  This Inner Loop Header: Depth=2
	v_mov_b32_e32 v18, s18
	ds_read2_b64 v[6:9], v18 offset1:1
	ds_read2_b64 v[10:13], v18 offset0:2 offset1:3
	ds_read2_b64 v[14:17], v18 offset0:4 offset1:5
	;; [unrolled: 1-line block ×3, first 2 shown]
	s_add_u32 s16, s16, 8
	s_waitcnt lgkmcnt(3)
	v_cmp_gt_i64_e32 vcc, v[2:3], v[8:9]
	v_cmp_gt_i64_e64 s[2:3], v[2:3], v[6:7]
	v_cndmask_b32_e64 v7, 0, 1, vcc
	s_waitcnt lgkmcnt(2)
	v_cmp_gt_i64_e32 vcc, v[2:3], v[10:11]
	v_cndmask_b32_e64 v6, 0, 1, s[2:3]
	v_cndmask_b32_e64 v8, 0, 1, vcc
	v_cmp_gt_i64_e32 vcc, v[2:3], v[12:13]
	s_addc_u32 s17, s17, 0
	v_cndmask_b32_e64 v9, 0, 1, vcc
	s_waitcnt lgkmcnt(1)
	v_cmp_gt_i64_e32 vcc, v[2:3], v[14:15]
	s_add_i32 s18, s18, 64
	v_cndmask_b32_e64 v10, 0, 1, vcc
	v_cmp_gt_i64_e32 vcc, v[2:3], v[16:17]
	s_cmp_eq_u64 s[10:11], s[16:17]
	v_cndmask_b32_e64 v11, 0, 1, vcc
	s_waitcnt lgkmcnt(0)
	v_cmp_gt_i64_e32 vcc, v[2:3], v[18:19]
	v_cndmask_b32_e64 v12, 0, 1, vcc
	v_cmp_gt_i64_e32 vcc, v[2:3], v[20:21]
	v_cndmask_b32_e64 v13, 0, 1, vcc
	v_add_co_u32_e32 v4, vcc, v4, v6
	v_addc_co_u32_e32 v5, vcc, 0, v5, vcc
	v_add_co_u32_e32 v4, vcc, v4, v7
	v_addc_co_u32_e32 v5, vcc, 0, v5, vcc
	;; [unrolled: 2-line block ×8, first 2 shown]
	s_cbranch_scc0 .LBB55_50
; %bb.51:                               ;   in Loop: Header=BB55_48 Depth=1
	s_mov_b64 s[2:3], s[10:11]
.LBB55_52:                              ;   in Loop: Header=BB55_48 Depth=1
	s_andn2_b64 vcc, exec, s[14:15]
	s_cbranch_vccnz .LBB55_47
; %bb.53:                               ;   in Loop: Header=BB55_48 Depth=1
	s_lshl_b32 s2, s2, 3
	s_add_i32 s16, s2, 0
	s_mov_b64 s[2:3], s[6:7]
.LBB55_54:                              ;   Parent Loop BB55_48 Depth=1
                                        ; =>  This Inner Loop Header: Depth=2
	v_mov_b32_e32 v6, s16
	ds_read_b64 v[6:7], v6
	s_add_i32 s16, s16, 8
	s_add_u32 s2, s2, -1
	s_addc_u32 s3, s3, -1
	s_cmp_lg_u64 s[2:3], 0
	s_waitcnt lgkmcnt(0)
	v_cmp_gt_i64_e32 vcc, v[2:3], v[6:7]
	v_cndmask_b32_e64 v6, 0, 1, vcc
	v_add_co_u32_e32 v4, vcc, v4, v6
	v_addc_co_u32_e32 v5, vcc, 0, v5, vcc
	s_cbranch_scc1 .LBB55_54
	s_branch .LBB55_47
.LBB55_55:
	s_endpgm
	.section	.rodata,"a",@progbits
	.p2align	6, 0x0
	.amdhsa_kernel _ZN9rocsparseL35csrgemm_symbolic_fill_block_per_rowILj256ELj32ELj512ELj137ELj64EllEEvT5_PKS1_S3_PKT4_S3_S6_S3_S6_S3_S6_PS1_21rocsparse_index_base_S8_S8_S8_bb
		.amdhsa_group_segment_fixed_size 0
		.amdhsa_private_segment_fixed_size 0
		.amdhsa_kernarg_size 108
		.amdhsa_user_sgpr_count 6
		.amdhsa_user_sgpr_private_segment_buffer 1
		.amdhsa_user_sgpr_dispatch_ptr 0
		.amdhsa_user_sgpr_queue_ptr 0
		.amdhsa_user_sgpr_kernarg_segment_ptr 1
		.amdhsa_user_sgpr_dispatch_id 0
		.amdhsa_user_sgpr_flat_scratch_init 0
		.amdhsa_user_sgpr_private_segment_size 0
		.amdhsa_uses_dynamic_stack 0
		.amdhsa_system_sgpr_private_segment_wavefront_offset 0
		.amdhsa_system_sgpr_workgroup_id_x 1
		.amdhsa_system_sgpr_workgroup_id_y 0
		.amdhsa_system_sgpr_workgroup_id_z 0
		.amdhsa_system_sgpr_workgroup_info 0
		.amdhsa_system_vgpr_workitem_id 0
		.amdhsa_next_free_vgpr 22
		.amdhsa_next_free_sgpr 47
		.amdhsa_reserve_vcc 1
		.amdhsa_reserve_flat_scratch 0
		.amdhsa_float_round_mode_32 0
		.amdhsa_float_round_mode_16_64 0
		.amdhsa_float_denorm_mode_32 3
		.amdhsa_float_denorm_mode_16_64 3
		.amdhsa_dx10_clamp 1
		.amdhsa_ieee_mode 1
		.amdhsa_fp16_overflow 0
		.amdhsa_exception_fp_ieee_invalid_op 0
		.amdhsa_exception_fp_denorm_src 0
		.amdhsa_exception_fp_ieee_div_zero 0
		.amdhsa_exception_fp_ieee_overflow 0
		.amdhsa_exception_fp_ieee_underflow 0
		.amdhsa_exception_fp_ieee_inexact 0
		.amdhsa_exception_int_div_zero 0
	.end_amdhsa_kernel
	.section	.text._ZN9rocsparseL35csrgemm_symbolic_fill_block_per_rowILj256ELj32ELj512ELj137ELj64EllEEvT5_PKS1_S3_PKT4_S3_S6_S3_S6_S3_S6_PS1_21rocsparse_index_base_S8_S8_S8_bb,"axG",@progbits,_ZN9rocsparseL35csrgemm_symbolic_fill_block_per_rowILj256ELj32ELj512ELj137ELj64EllEEvT5_PKS1_S3_PKT4_S3_S6_S3_S6_S3_S6_PS1_21rocsparse_index_base_S8_S8_S8_bb,comdat
.Lfunc_end55:
	.size	_ZN9rocsparseL35csrgemm_symbolic_fill_block_per_rowILj256ELj32ELj512ELj137ELj64EllEEvT5_PKS1_S3_PKT4_S3_S6_S3_S6_S3_S6_PS1_21rocsparse_index_base_S8_S8_S8_bb, .Lfunc_end55-_ZN9rocsparseL35csrgemm_symbolic_fill_block_per_rowILj256ELj32ELj512ELj137ELj64EllEEvT5_PKS1_S3_PKT4_S3_S6_S3_S6_S3_S6_PS1_21rocsparse_index_base_S8_S8_S8_bb
                                        ; -- End function
	.set _ZN9rocsparseL35csrgemm_symbolic_fill_block_per_rowILj256ELj32ELj512ELj137ELj64EllEEvT5_PKS1_S3_PKT4_S3_S6_S3_S6_S3_S6_PS1_21rocsparse_index_base_S8_S8_S8_bb.num_vgpr, 22
	.set _ZN9rocsparseL35csrgemm_symbolic_fill_block_per_rowILj256ELj32ELj512ELj137ELj64EllEEvT5_PKS1_S3_PKT4_S3_S6_S3_S6_S3_S6_PS1_21rocsparse_index_base_S8_S8_S8_bb.num_agpr, 0
	.set _ZN9rocsparseL35csrgemm_symbolic_fill_block_per_rowILj256ELj32ELj512ELj137ELj64EllEEvT5_PKS1_S3_PKT4_S3_S6_S3_S6_S3_S6_PS1_21rocsparse_index_base_S8_S8_S8_bb.numbered_sgpr, 47
	.set _ZN9rocsparseL35csrgemm_symbolic_fill_block_per_rowILj256ELj32ELj512ELj137ELj64EllEEvT5_PKS1_S3_PKT4_S3_S6_S3_S6_S3_S6_PS1_21rocsparse_index_base_S8_S8_S8_bb.num_named_barrier, 0
	.set _ZN9rocsparseL35csrgemm_symbolic_fill_block_per_rowILj256ELj32ELj512ELj137ELj64EllEEvT5_PKS1_S3_PKT4_S3_S6_S3_S6_S3_S6_PS1_21rocsparse_index_base_S8_S8_S8_bb.private_seg_size, 0
	.set _ZN9rocsparseL35csrgemm_symbolic_fill_block_per_rowILj256ELj32ELj512ELj137ELj64EllEEvT5_PKS1_S3_PKT4_S3_S6_S3_S6_S3_S6_PS1_21rocsparse_index_base_S8_S8_S8_bb.uses_vcc, 1
	.set _ZN9rocsparseL35csrgemm_symbolic_fill_block_per_rowILj256ELj32ELj512ELj137ELj64EllEEvT5_PKS1_S3_PKT4_S3_S6_S3_S6_S3_S6_PS1_21rocsparse_index_base_S8_S8_S8_bb.uses_flat_scratch, 0
	.set _ZN9rocsparseL35csrgemm_symbolic_fill_block_per_rowILj256ELj32ELj512ELj137ELj64EllEEvT5_PKS1_S3_PKT4_S3_S6_S3_S6_S3_S6_PS1_21rocsparse_index_base_S8_S8_S8_bb.has_dyn_sized_stack, 0
	.set _ZN9rocsparseL35csrgemm_symbolic_fill_block_per_rowILj256ELj32ELj512ELj137ELj64EllEEvT5_PKS1_S3_PKT4_S3_S6_S3_S6_S3_S6_PS1_21rocsparse_index_base_S8_S8_S8_bb.has_recursion, 0
	.set _ZN9rocsparseL35csrgemm_symbolic_fill_block_per_rowILj256ELj32ELj512ELj137ELj64EllEEvT5_PKS1_S3_PKT4_S3_S6_S3_S6_S3_S6_PS1_21rocsparse_index_base_S8_S8_S8_bb.has_indirect_call, 0
	.section	.AMDGPU.csdata,"",@progbits
; Kernel info:
; codeLenInByte = 2112
; TotalNumSgprs: 51
; NumVgprs: 22
; ScratchSize: 0
; MemoryBound: 0
; FloatMode: 240
; IeeeMode: 1
; LDSByteSize: 0 bytes/workgroup (compile time only)
; SGPRBlocks: 6
; VGPRBlocks: 5
; NumSGPRsForWavesPerEU: 51
; NumVGPRsForWavesPerEU: 22
; Occupancy: 10
; WaveLimiterHint : 1
; COMPUTE_PGM_RSRC2:SCRATCH_EN: 0
; COMPUTE_PGM_RSRC2:USER_SGPR: 6
; COMPUTE_PGM_RSRC2:TRAP_HANDLER: 0
; COMPUTE_PGM_RSRC2:TGID_X_EN: 1
; COMPUTE_PGM_RSRC2:TGID_Y_EN: 0
; COMPUTE_PGM_RSRC2:TGID_Z_EN: 0
; COMPUTE_PGM_RSRC2:TIDIG_COMP_CNT: 0
	.section	.text._ZN9rocsparseL35csrgemm_symbolic_fill_block_per_rowILj512ELj32ELj1024ELj137ELj32EllEEvT5_PKS1_S3_PKT4_S3_S6_S3_S6_S3_S6_PS1_21rocsparse_index_base_S8_S8_S8_bb,"axG",@progbits,_ZN9rocsparseL35csrgemm_symbolic_fill_block_per_rowILj512ELj32ELj1024ELj137ELj32EllEEvT5_PKS1_S3_PKT4_S3_S6_S3_S6_S3_S6_PS1_21rocsparse_index_base_S8_S8_S8_bb,comdat
	.globl	_ZN9rocsparseL35csrgemm_symbolic_fill_block_per_rowILj512ELj32ELj1024ELj137ELj32EllEEvT5_PKS1_S3_PKT4_S3_S6_S3_S6_S3_S6_PS1_21rocsparse_index_base_S8_S8_S8_bb ; -- Begin function _ZN9rocsparseL35csrgemm_symbolic_fill_block_per_rowILj512ELj32ELj1024ELj137ELj32EllEEvT5_PKS1_S3_PKT4_S3_S6_S3_S6_S3_S6_PS1_21rocsparse_index_base_S8_S8_S8_bb
	.p2align	8
	.type	_ZN9rocsparseL35csrgemm_symbolic_fill_block_per_rowILj512ELj32ELj1024ELj137ELj32EllEEvT5_PKS1_S3_PKT4_S3_S6_S3_S6_S3_S6_PS1_21rocsparse_index_base_S8_S8_S8_bb,@function
_ZN9rocsparseL35csrgemm_symbolic_fill_block_per_rowILj512ELj32ELj1024ELj137ELj32EllEEvT5_PKS1_S3_PKT4_S3_S6_S3_S6_S3_S6_PS1_21rocsparse_index_base_S8_S8_S8_bb: ; @_ZN9rocsparseL35csrgemm_symbolic_fill_block_per_rowILj512ELj32ELj1024ELj137ELj32EllEEvT5_PKS1_S3_PKT4_S3_S6_S3_S6_S3_S6_PS1_21rocsparse_index_base_S8_S8_S8_bb
; %bb.0:
	s_load_dwordx2 s[34:35], s[4:5], 0x50
	s_load_dwordx4 s[48:51], s[4:5], 0x40
	s_load_dwordx8 s[36:43], s[4:5], 0x0
	s_load_dwordx8 s[8:15], s[4:5], 0x20
	v_or_b32_e32 v11, 0xfffffe00, v0
	v_lshl_add_u32 v12, v0, 3, 0
	s_mov_b64 s[0:1], 0
	s_waitcnt lgkmcnt(0)
	v_mov_b32_e32 v1, s36
	v_mov_b32_e32 v2, s37
	v_mov_b32_e32 v3, v12
	v_mov_b32_e32 v4, v11
.LBB56_1:                               ; =>This Inner Loop Header: Depth=1
	v_add_co_u32_e32 v4, vcc, 0x200, v4
	s_xor_b64 s[2:3], vcc, -1
	s_and_b64 s[2:3], exec, s[2:3]
	ds_write_b64 v3, v[1:2]
	s_or_b64 s[0:1], s[2:3], s[0:1]
	v_add_u32_e32 v3, 0x1000, v3
	s_andn2_b64 exec, exec, s[0:1]
	s_cbranch_execnz .LBB56_1
; %bb.2:
	s_or_b64 exec, exec, s[0:1]
	s_load_dword s28, s[4:5], 0x68
	s_waitcnt lgkmcnt(0)
	s_barrier
	s_load_dwordx2 s[0:1], s[38:39], 0x0
	s_load_dwordx4 s[44:47], s[4:5], 0x58
	s_bitcmp1_b32 s28, 0
	s_cselect_b64 s[2:3], -1, 0
	s_mov_b32 s7, 0
	s_waitcnt lgkmcnt(0)
	s_lshl_b64 s[0:1], s[0:1], 3
	s_add_u32 s4, s40, s0
	s_addc_u32 s5, s41, s1
	s_lshl_b64 s[0:1], s[6:7], 3
	s_add_u32 s0, s4, s0
	s_addc_u32 s1, s5, s1
	s_load_dwordx2 s[38:39], s[0:1], 0x0
	v_lshrrev_b32_e32 v13, 5, v0
	s_and_b64 vcc, exec, s[2:3]
	s_cbranch_vccz .LBB56_18
; %bb.3:
	s_waitcnt lgkmcnt(0)
	s_lshl_b64 s[0:1], s[38:39], 3
	s_add_u32 s0, s42, s0
	s_addc_u32 s1, s43, s1
	s_load_dwordx4 s[4:7], s[0:1], 0x0
	v_subrev_co_u32_e32 v1, vcc, s44, v13
	v_subb_co_u32_e64 v2, s[0:1], 0, 0, vcc
	s_waitcnt lgkmcnt(0)
	s_sub_u32 s0, s6, s44
	v_mov_b32_e32 v3, s5
	v_add_co_u32_e32 v1, vcc, s4, v1
	s_subb_u32 s1, s7, 0
	v_addc_co_u32_e32 v2, vcc, v3, v2, vcc
	v_cmp_gt_i64_e32 vcc, s[0:1], v[1:2]
	s_and_saveexec_b64 s[2:3], vcc
	s_cbranch_execz .LBB56_17
; %bb.4:
	v_and_b32_e32 v3, 31, v0
	v_subrev_co_u32_e32 v14, vcc, s45, v3
	v_subb_co_u32_e64 v15, s[4:5], 0, 0, vcc
	s_mov_b32 s29, s45
	s_mov_b64 s[4:5], 0
	v_mov_b32_e32 v16, s9
	v_mov_b32_e32 v17, s11
	s_movk_i32 s9, 0x89
	s_branch .LBB56_6
.LBB56_5:                               ;   in Loop: Header=BB56_6 Depth=1
	s_or_b64 exec, exec, s[6:7]
	v_add_co_u32_e32 v1, vcc, 16, v1
	v_addc_co_u32_e32 v2, vcc, 0, v2, vcc
	v_cmp_le_i64_e32 vcc, s[0:1], v[1:2]
	s_or_b64 s[4:5], vcc, s[4:5]
	s_andn2_b64 exec, exec, s[4:5]
	s_cbranch_execz .LBB56_17
.LBB56_6:                               ; =>This Loop Header: Depth=1
                                        ;     Child Loop BB56_9 Depth 2
                                        ;       Child Loop BB56_12 Depth 3
	v_lshlrev_b64 v[3:4], 3, v[1:2]
	v_add_co_u32_e32 v3, vcc, s8, v3
	v_addc_co_u32_e32 v4, vcc, v16, v4, vcc
	global_load_dwordx2 v[3:4], v[3:4], off
	s_waitcnt vmcnt(0)
	v_subrev_co_u32_e32 v3, vcc, s44, v3
	v_subbrev_co_u32_e32 v4, vcc, 0, v4, vcc
	v_lshlrev_b64 v[3:4], 3, v[3:4]
	v_add_co_u32_e32 v3, vcc, s10, v3
	v_addc_co_u32_e32 v4, vcc, v17, v4, vcc
	global_load_dwordx4 v[5:8], v[3:4], off
	s_waitcnt vmcnt(0)
	v_subrev_co_u32_e32 v3, vcc, s29, v7
	v_subbrev_co_u32_e32 v4, vcc, 0, v8, vcc
	v_add_co_u32_e32 v5, vcc, v5, v14
	v_addc_co_u32_e32 v6, vcc, v6, v15, vcc
	v_cmp_lt_i64_e32 vcc, v[5:6], v[3:4]
	s_and_saveexec_b64 s[6:7], vcc
	s_cbranch_execz .LBB56_5
; %bb.7:                                ;   in Loop: Header=BB56_6 Depth=1
	s_mov_b64 s[16:17], 0
	s_branch .LBB56_9
.LBB56_8:                               ;   in Loop: Header=BB56_9 Depth=2
	s_or_b64 exec, exec, s[18:19]
	v_add_co_u32_e32 v5, vcc, 32, v5
	v_addc_co_u32_e32 v6, vcc, 0, v6, vcc
	v_cmp_ge_i64_e32 vcc, v[5:6], v[3:4]
	s_or_b64 s[16:17], vcc, s[16:17]
	s_andn2_b64 exec, exec, s[16:17]
	s_cbranch_execz .LBB56_5
.LBB56_9:                               ;   Parent Loop BB56_6 Depth=1
                                        ; =>  This Loop Header: Depth=2
                                        ;       Child Loop BB56_12 Depth 3
	v_lshlrev_b64 v[7:8], 3, v[5:6]
	v_mov_b32_e32 v9, s13
	v_add_co_u32_e32 v7, vcc, s12, v7
	v_addc_co_u32_e32 v8, vcc, v9, v8, vcc
	global_load_dwordx2 v[7:8], v[7:8], off
	s_mov_b64 s[18:19], 0
                                        ; implicit-def: $sgpr20_sgpr21
	s_waitcnt vmcnt(0)
	v_subrev_co_u32_e32 v7, vcc, s29, v7
	v_mul_lo_u32 v9, v7, s9
	v_subbrev_co_u32_e32 v8, vcc, 0, v8, vcc
	v_and_b32_e32 v18, 0x3ff, v9
	s_branch .LBB56_12
.LBB56_10:                              ;   in Loop: Header=BB56_12 Depth=3
	s_or_b64 exec, exec, s[24:25]
	s_andn2_b64 s[20:21], s[20:21], exec
	s_and_b64 s[24:25], s[26:27], exec
	s_or_b64 s[20:21], s[20:21], s[24:25]
.LBB56_11:                              ;   in Loop: Header=BB56_12 Depth=3
	s_or_b64 exec, exec, s[22:23]
	s_xor_b64 s[22:23], s[20:21], -1
	s_and_b64 s[22:23], exec, s[22:23]
	s_or_b64 s[18:19], s[22:23], s[18:19]
	s_andn2_b64 exec, exec, s[18:19]
	s_cbranch_execz .LBB56_8
.LBB56_12:                              ;   Parent Loop BB56_6 Depth=1
                                        ;     Parent Loop BB56_9 Depth=2
                                        ; =>    This Inner Loop Header: Depth=3
	v_lshl_add_u32 v19, v18, 3, 0
	ds_read_b64 v[9:10], v19
	s_andn2_b64 s[20:21], s[20:21], exec
	s_waitcnt lgkmcnt(0)
	v_cmp_ne_u64_e32 vcc, v[9:10], v[7:8]
	s_and_saveexec_b64 s[22:23], vcc
	s_cbranch_execz .LBB56_11
; %bb.13:                               ;   in Loop: Header=BB56_12 Depth=3
	v_cmp_ne_u64_e32 vcc, s[36:37], v[9:10]
	s_and_saveexec_b64 s[24:25], vcc
	s_xor_b64 s[24:25], exec, s[24:25]
; %bb.14:                               ;   in Loop: Header=BB56_12 Depth=3
	v_add_u32_e32 v9, 1, v18
	v_and_b32_e32 v18, 0x3ff, v9
                                        ; implicit-def: $vgpr19
; %bb.15:                               ;   in Loop: Header=BB56_12 Depth=3
	s_or_saveexec_b64 s[24:25], s[24:25]
	s_mov_b64 s[26:27], -1
	s_xor_b64 exec, exec, s[24:25]
	s_cbranch_execz .LBB56_10
; %bb.16:                               ;   in Loop: Header=BB56_12 Depth=3
	v_mov_b32_e32 v9, s36
	v_mov_b32_e32 v10, s37
	ds_cmpst_rtn_b64 v[9:10], v19, v[9:10], v[7:8]
	s_waitcnt lgkmcnt(0)
	v_cmp_ne_u64_e32 vcc, s[36:37], v[9:10]
	s_orn2_b64 s[26:27], vcc, exec
	s_branch .LBB56_10
.LBB56_17:
	s_or_b64 exec, exec, s[2:3]
.LBB56_18:
	s_bfe_u32 s0, s28, 0x10008
	s_cmp_eq_u32 s0, 0
	s_cbranch_scc1 .LBB56_31
; %bb.19:
	s_waitcnt lgkmcnt(0)
	s_lshl_b64 s[0:1], s[38:39], 3
	s_add_u32 s0, s14, s0
	s_addc_u32 s1, s15, s1
	s_load_dwordx4 s[4:7], s[0:1], 0x0
	v_subrev_co_u32_e32 v1, vcc, s47, v0
	v_subb_co_u32_e64 v2, s[0:1], 0, 0, vcc
	s_waitcnt lgkmcnt(0)
	s_sub_u32 s0, s6, s47
	v_mov_b32_e32 v3, s5
	v_add_co_u32_e32 v1, vcc, s4, v1
	s_subb_u32 s1, s7, 0
	v_addc_co_u32_e32 v2, vcc, v3, v2, vcc
	v_cmp_gt_i64_e32 vcc, s[0:1], v[1:2]
	s_and_saveexec_b64 s[2:3], vcc
	s_cbranch_execz .LBB56_30
; %bb.20:
	s_mov_b32 s16, s47
	s_mov_b64 s[4:5], 0
	v_mov_b32_e32 v7, s49
	s_movk_i32 s17, 0x89
	s_branch .LBB56_22
.LBB56_21:                              ;   in Loop: Header=BB56_22 Depth=1
	s_or_b64 exec, exec, s[6:7]
	v_add_co_u32_e32 v1, vcc, 0x200, v1
	v_addc_co_u32_e32 v2, vcc, 0, v2, vcc
	v_cmp_le_i64_e32 vcc, s[0:1], v[1:2]
	s_or_b64 s[4:5], vcc, s[4:5]
	s_andn2_b64 exec, exec, s[4:5]
	s_cbranch_execz .LBB56_30
.LBB56_22:                              ; =>This Loop Header: Depth=1
                                        ;     Child Loop BB56_25 Depth 2
	v_lshlrev_b64 v[3:4], 3, v[1:2]
	s_mov_b64 s[6:7], 0
	v_add_co_u32_e32 v3, vcc, s48, v3
	v_addc_co_u32_e32 v4, vcc, v7, v4, vcc
	global_load_dwordx2 v[3:4], v[3:4], off
                                        ; implicit-def: $sgpr8_sgpr9
	s_waitcnt vmcnt(0)
	v_subrev_co_u32_e32 v3, vcc, s16, v3
	v_mul_lo_u32 v5, v3, s17
	v_subbrev_co_u32_e32 v4, vcc, 0, v4, vcc
	v_and_b32_e32 v8, 0x3ff, v5
	s_branch .LBB56_25
.LBB56_23:                              ;   in Loop: Header=BB56_25 Depth=2
	s_or_b64 exec, exec, s[12:13]
	s_andn2_b64 s[8:9], s[8:9], exec
	s_and_b64 s[12:13], s[14:15], exec
	s_or_b64 s[8:9], s[8:9], s[12:13]
.LBB56_24:                              ;   in Loop: Header=BB56_25 Depth=2
	s_or_b64 exec, exec, s[10:11]
	s_xor_b64 s[10:11], s[8:9], -1
	s_and_b64 s[10:11], exec, s[10:11]
	s_or_b64 s[6:7], s[10:11], s[6:7]
	s_andn2_b64 exec, exec, s[6:7]
	s_cbranch_execz .LBB56_21
.LBB56_25:                              ;   Parent Loop BB56_22 Depth=1
                                        ; =>  This Inner Loop Header: Depth=2
	v_lshl_add_u32 v9, v8, 3, 0
	ds_read_b64 v[5:6], v9
	s_andn2_b64 s[8:9], s[8:9], exec
	s_waitcnt lgkmcnt(0)
	v_cmp_ne_u64_e32 vcc, v[5:6], v[3:4]
	s_and_saveexec_b64 s[10:11], vcc
	s_cbranch_execz .LBB56_24
; %bb.26:                               ;   in Loop: Header=BB56_25 Depth=2
	v_cmp_ne_u64_e32 vcc, s[36:37], v[5:6]
	s_and_saveexec_b64 s[12:13], vcc
	s_xor_b64 s[12:13], exec, s[12:13]
; %bb.27:                               ;   in Loop: Header=BB56_25 Depth=2
	v_add_u32_e32 v5, 1, v8
	v_and_b32_e32 v8, 0x3ff, v5
                                        ; implicit-def: $vgpr9
; %bb.28:                               ;   in Loop: Header=BB56_25 Depth=2
	s_or_saveexec_b64 s[12:13], s[12:13]
	s_mov_b64 s[14:15], -1
	s_xor_b64 exec, exec, s[12:13]
	s_cbranch_execz .LBB56_23
; %bb.29:                               ;   in Loop: Header=BB56_25 Depth=2
	v_mov_b32_e32 v5, s36
	v_mov_b32_e32 v6, s37
	ds_cmpst_rtn_b64 v[5:6], v9, v[5:6], v[3:4]
	s_waitcnt lgkmcnt(0)
	v_cmp_ne_u64_e32 vcc, s[36:37], v[5:6]
	s_orn2_b64 s[14:15], vcc, exec
	s_branch .LBB56_23
.LBB56_30:
	s_or_b64 exec, exec, s[2:3]
.LBB56_31:
	v_mbcnt_lo_u32_b32 v1, -1, 0
	v_mbcnt_hi_u32_b32 v1, -1, v1
	v_sub_u32_e32 v1, 63, v1
	v_lshrrev_b64 v[3:4], v1, -1
	s_movk_i32 s0, 0x1ff
	s_movk_i32 s6, 0x5f
	;; [unrolled: 1-line block ×14, first 2 shown]
	v_mov_b32_e32 v5, 0
	v_mov_b32_e32 v2, 0
	v_lshl_add_u32 v13, v13, 3, 0
	v_cmp_eq_u32_e64 s[0:1], s0, v0
	v_cmp_lt_u32_e64 s[2:3], 31, v0
	v_cmp_lt_u32_e64 s[4:5], 63, v0
	;; [unrolled: 1-line block ×15, first 2 shown]
	v_mov_b32_e32 v6, 0
	s_mov_b64 s[40:41], 0
	s_waitcnt lgkmcnt(0)
	s_barrier
	s_branch .LBB56_33
.LBB56_32:                              ;   in Loop: Header=BB56_33 Depth=1
	s_or_b64 exec, exec, s[42:43]
	s_waitcnt lgkmcnt(0)
	s_barrier
	ds_read_b64 v[7:8], v2 offset:8312
	v_add_u32_e32 v12, 0x1000, v12
	s_waitcnt lgkmcnt(0)
	v_add_co_u32_e32 v5, vcc, v7, v5
	v_addc_co_u32_e32 v6, vcc, v8, v6, vcc
	v_add_co_u32_e32 v11, vcc, 0x200, v11
	s_xor_b64 s[42:43], vcc, -1
	s_and_b64 s[42:43], exec, s[42:43]
	s_or_b64 s[40:41], s[42:43], s[40:41]
	s_andn2_b64 exec, exec, s[40:41]
	s_cbranch_execz .LBB56_67
.LBB56_33:                              ; =>This Inner Loop Header: Depth=1
	ds_read_b64 v[7:8], v12
	s_waitcnt lgkmcnt(0)
	s_barrier
	v_cmp_gt_i64_e32 vcc, s[36:37], v[7:8]
	v_and_b32_e32 v10, vcc_lo, v3
	s_bcnt1_i32_b64 s33, vcc
	v_and_b32_e32 v9, vcc_hi, v4
	v_bcnt_u32_b32 v10, v10, 0
	v_mov_b32_e32 v1, s33
	v_bcnt_u32_b32 v9, v9, v10
	ds_write_b64 v13, v[1:2] offset:8192
	s_waitcnt lgkmcnt(0)
	s_barrier
	s_and_saveexec_b64 s[42:43], s[2:3]
	s_cbranch_execnz .LBB56_50
; %bb.34:                               ;   in Loop: Header=BB56_33 Depth=1
	s_or_b64 exec, exec, s[42:43]
	s_and_saveexec_b64 s[42:43], s[4:5]
	s_cbranch_execnz .LBB56_51
.LBB56_35:                              ;   in Loop: Header=BB56_33 Depth=1
	s_or_b64 exec, exec, s[42:43]
	s_and_saveexec_b64 s[42:43], s[6:7]
	s_cbranch_execnz .LBB56_52
.LBB56_36:                              ;   in Loop: Header=BB56_33 Depth=1
	s_or_b64 exec, exec, s[42:43]
	s_and_saveexec_b64 s[42:43], s[8:9]
	s_cbranch_execnz .LBB56_53
.LBB56_37:                              ;   in Loop: Header=BB56_33 Depth=1
	s_or_b64 exec, exec, s[42:43]
	s_and_saveexec_b64 s[42:43], s[10:11]
	s_cbranch_execnz .LBB56_54
.LBB56_38:                              ;   in Loop: Header=BB56_33 Depth=1
	s_or_b64 exec, exec, s[42:43]
	s_and_saveexec_b64 s[42:43], s[12:13]
	s_cbranch_execnz .LBB56_55
.LBB56_39:                              ;   in Loop: Header=BB56_33 Depth=1
	s_or_b64 exec, exec, s[42:43]
	s_and_saveexec_b64 s[42:43], s[14:15]
	s_cbranch_execnz .LBB56_56
.LBB56_40:                              ;   in Loop: Header=BB56_33 Depth=1
	s_or_b64 exec, exec, s[42:43]
	s_and_saveexec_b64 s[42:43], s[16:17]
	s_cbranch_execnz .LBB56_57
.LBB56_41:                              ;   in Loop: Header=BB56_33 Depth=1
	s_or_b64 exec, exec, s[42:43]
	s_and_saveexec_b64 s[42:43], s[18:19]
	s_cbranch_execnz .LBB56_58
.LBB56_42:                              ;   in Loop: Header=BB56_33 Depth=1
	s_or_b64 exec, exec, s[42:43]
	s_and_saveexec_b64 s[42:43], s[20:21]
	s_cbranch_execnz .LBB56_59
.LBB56_43:                              ;   in Loop: Header=BB56_33 Depth=1
	s_or_b64 exec, exec, s[42:43]
	s_and_saveexec_b64 s[42:43], s[22:23]
	s_cbranch_execnz .LBB56_60
.LBB56_44:                              ;   in Loop: Header=BB56_33 Depth=1
	s_or_b64 exec, exec, s[42:43]
	s_and_saveexec_b64 s[42:43], s[24:25]
	s_cbranch_execnz .LBB56_61
.LBB56_45:                              ;   in Loop: Header=BB56_33 Depth=1
	s_or_b64 exec, exec, s[42:43]
	s_and_saveexec_b64 s[42:43], s[26:27]
	s_cbranch_execnz .LBB56_62
.LBB56_46:                              ;   in Loop: Header=BB56_33 Depth=1
	s_or_b64 exec, exec, s[42:43]
	s_and_saveexec_b64 s[42:43], s[28:29]
	s_cbranch_execnz .LBB56_63
.LBB56_47:                              ;   in Loop: Header=BB56_33 Depth=1
	s_or_b64 exec, exec, s[42:43]
	s_and_saveexec_b64 s[42:43], s[30:31]
	s_cbranch_execnz .LBB56_64
.LBB56_48:                              ;   in Loop: Header=BB56_33 Depth=1
	s_or_b64 exec, exec, s[42:43]
	v_ashrrev_i32_e32 v10, 31, v9
	s_and_saveexec_b64 s[42:43], vcc
	s_cbranch_execnz .LBB56_65
.LBB56_49:                              ;   in Loop: Header=BB56_33 Depth=1
	s_or_b64 exec, exec, s[42:43]
	s_and_saveexec_b64 s[42:43], s[0:1]
	s_cbranch_execz .LBB56_32
	s_branch .LBB56_66
.LBB56_50:                              ;   in Loop: Header=BB56_33 Depth=1
	ds_read_b32 v1, v2 offset:8192
	s_waitcnt lgkmcnt(0)
	v_add_u32_e32 v9, v1, v9
	s_or_b64 exec, exec, s[42:43]
	s_and_saveexec_b64 s[42:43], s[4:5]
	s_cbranch_execz .LBB56_35
.LBB56_51:                              ;   in Loop: Header=BB56_33 Depth=1
	ds_read_b32 v1, v2 offset:8200
	s_waitcnt lgkmcnt(0)
	v_add_u32_e32 v9, v9, v1
	s_or_b64 exec, exec, s[42:43]
	s_and_saveexec_b64 s[42:43], s[6:7]
	s_cbranch_execz .LBB56_36
.LBB56_52:                              ;   in Loop: Header=BB56_33 Depth=1
	ds_read_b32 v1, v2 offset:8208
	s_waitcnt lgkmcnt(0)
	v_add_u32_e32 v9, v9, v1
	s_or_b64 exec, exec, s[42:43]
	s_and_saveexec_b64 s[42:43], s[8:9]
	s_cbranch_execz .LBB56_37
.LBB56_53:                              ;   in Loop: Header=BB56_33 Depth=1
	ds_read_b32 v1, v2 offset:8216
	s_waitcnt lgkmcnt(0)
	v_add_u32_e32 v9, v9, v1
	s_or_b64 exec, exec, s[42:43]
	s_and_saveexec_b64 s[42:43], s[10:11]
	s_cbranch_execz .LBB56_38
.LBB56_54:                              ;   in Loop: Header=BB56_33 Depth=1
	ds_read_b32 v1, v2 offset:8224
	s_waitcnt lgkmcnt(0)
	v_add_u32_e32 v9, v9, v1
	s_or_b64 exec, exec, s[42:43]
	s_and_saveexec_b64 s[42:43], s[12:13]
	s_cbranch_execz .LBB56_39
.LBB56_55:                              ;   in Loop: Header=BB56_33 Depth=1
	ds_read_b32 v1, v2 offset:8232
	s_waitcnt lgkmcnt(0)
	v_add_u32_e32 v9, v9, v1
	s_or_b64 exec, exec, s[42:43]
	s_and_saveexec_b64 s[42:43], s[14:15]
	s_cbranch_execz .LBB56_40
.LBB56_56:                              ;   in Loop: Header=BB56_33 Depth=1
	ds_read_b32 v1, v2 offset:8240
	s_waitcnt lgkmcnt(0)
	v_add_u32_e32 v9, v9, v1
	s_or_b64 exec, exec, s[42:43]
	s_and_saveexec_b64 s[42:43], s[16:17]
	s_cbranch_execz .LBB56_41
.LBB56_57:                              ;   in Loop: Header=BB56_33 Depth=1
	ds_read_b32 v1, v2 offset:8248
	s_waitcnt lgkmcnt(0)
	v_add_u32_e32 v9, v9, v1
	s_or_b64 exec, exec, s[42:43]
	s_and_saveexec_b64 s[42:43], s[18:19]
	s_cbranch_execz .LBB56_42
.LBB56_58:                              ;   in Loop: Header=BB56_33 Depth=1
	ds_read_b32 v1, v2 offset:8256
	s_waitcnt lgkmcnt(0)
	v_add_u32_e32 v9, v9, v1
	s_or_b64 exec, exec, s[42:43]
	s_and_saveexec_b64 s[42:43], s[20:21]
	s_cbranch_execz .LBB56_43
.LBB56_59:                              ;   in Loop: Header=BB56_33 Depth=1
	ds_read_b32 v1, v2 offset:8264
	s_waitcnt lgkmcnt(0)
	v_add_u32_e32 v9, v9, v1
	s_or_b64 exec, exec, s[42:43]
	s_and_saveexec_b64 s[42:43], s[22:23]
	s_cbranch_execz .LBB56_44
.LBB56_60:                              ;   in Loop: Header=BB56_33 Depth=1
	ds_read_b32 v1, v2 offset:8272
	s_waitcnt lgkmcnt(0)
	v_add_u32_e32 v9, v9, v1
	s_or_b64 exec, exec, s[42:43]
	s_and_saveexec_b64 s[42:43], s[24:25]
	s_cbranch_execz .LBB56_45
.LBB56_61:                              ;   in Loop: Header=BB56_33 Depth=1
	ds_read_b32 v1, v2 offset:8280
	s_waitcnt lgkmcnt(0)
	v_add_u32_e32 v9, v9, v1
	s_or_b64 exec, exec, s[42:43]
	s_and_saveexec_b64 s[42:43], s[26:27]
	s_cbranch_execz .LBB56_46
.LBB56_62:                              ;   in Loop: Header=BB56_33 Depth=1
	ds_read_b32 v1, v2 offset:8288
	s_waitcnt lgkmcnt(0)
	v_add_u32_e32 v9, v9, v1
	s_or_b64 exec, exec, s[42:43]
	s_and_saveexec_b64 s[42:43], s[28:29]
	s_cbranch_execz .LBB56_47
.LBB56_63:                              ;   in Loop: Header=BB56_33 Depth=1
	ds_read_b32 v1, v2 offset:8296
	s_waitcnt lgkmcnt(0)
	v_add_u32_e32 v9, v9, v1
	s_or_b64 exec, exec, s[42:43]
	s_and_saveexec_b64 s[42:43], s[30:31]
	s_cbranch_execz .LBB56_48
.LBB56_64:                              ;   in Loop: Header=BB56_33 Depth=1
	ds_read_b32 v1, v2 offset:8304
	s_waitcnt lgkmcnt(0)
	v_add_u32_e32 v9, v9, v1
	s_or_b64 exec, exec, s[42:43]
	v_ashrrev_i32_e32 v10, 31, v9
	s_and_saveexec_b64 s[42:43], vcc
	s_cbranch_execz .LBB56_49
.LBB56_65:                              ;   in Loop: Header=BB56_33 Depth=1
	v_lshlrev_b32_e32 v1, 3, v5
	v_add_u32_e32 v1, 0, v1
	v_lshlrev_b32_e32 v14, 3, v9
	v_add3_u32 v1, v1, v14, -8
	ds_write_b64 v1, v[7:8]
	s_or_b64 exec, exec, s[42:43]
	s_and_saveexec_b64 s[42:43], s[0:1]
	s_cbranch_execz .LBB56_32
.LBB56_66:                              ;   in Loop: Header=BB56_33 Depth=1
	ds_write_b64 v2, v[9:10] offset:8312
	s_branch .LBB56_32
.LBB56_67:
	s_or_b64 exec, exec, s[40:41]
	s_lshl_b64 s[0:1], s[38:39], 3
	s_add_u32 s4, s50, s0
	s_addc_u32 s5, s51, s1
	s_load_dwordx4 s[0:3], s[4:5], 0x0
	v_mov_b32_e32 v1, 0
	s_waitcnt lgkmcnt(0)
	s_sub_u32 s4, s2, s0
	s_subb_u32 s5, s3, s1
	v_cmp_gt_i64_e32 vcc, s[4:5], v[0:1]
	s_and_saveexec_b64 s[6:7], vcc
	s_cbranch_execz .LBB56_77
; %bb.68:
	s_sub_u32 s8, s0, s46
	s_subb_u32 s9, s1, 0
	s_and_b32 s6, s4, 7
	s_sub_u32 s0, s0, s2
	s_subb_u32 s1, s1, s3
	v_cmp_lt_u64_e64 s[0:1], s[0:1], -7
	s_mov_b32 s7, 0
	s_and_b32 s10, s4, -8
	s_cmp_lg_u64 s[6:7], 0
	v_cndmask_b32_e64 v2, 0, 1, s[0:1]
	s_mov_b32 s11, s5
	s_mov_b64 s[12:13], 0
	s_cselect_b64 s[14:15], -1, 0
	v_cmp_ne_u32_e64 s[0:1], 1, v2
	s_branch .LBB56_70
.LBB56_69:                              ;   in Loop: Header=BB56_70 Depth=1
	s_waitcnt lgkmcnt(0)
	v_add_co_u32_e32 v2, vcc, s46, v2
	v_addc_co_u32_e32 v3, vcc, 0, v3, vcc
	v_add_co_u32_e32 v0, vcc, 0x200, v0
	v_lshlrev_b64 v[4:5], 3, v[4:5]
	v_addc_co_u32_e32 v1, vcc, 0, v1, vcc
	v_cmp_le_i64_e32 vcc, s[4:5], v[0:1]
	v_mov_b32_e32 v6, s35
	v_add_co_u32_e64 v4, s[2:3], s34, v4
	v_addc_co_u32_e64 v5, s[2:3], v6, v5, s[2:3]
	s_or_b64 s[12:13], vcc, s[12:13]
	global_store_dwordx2 v[4:5], v[2:3], off
	s_andn2_b64 exec, exec, s[12:13]
	s_cbranch_execz .LBB56_77
.LBB56_70:                              ; =>This Loop Header: Depth=1
                                        ;     Child Loop BB56_72 Depth 2
                                        ;     Child Loop BB56_76 Depth 2
	v_lshl_add_u32 v2, v0, 3, 0
	ds_read_b64 v[2:3], v2
	v_mov_b32_e32 v4, s8
	s_and_b64 vcc, exec, s[0:1]
	v_mov_b32_e32 v5, s9
	s_mov_b64 s[2:3], 0
	s_cbranch_vccnz .LBB56_74
; %bb.71:                               ;   in Loop: Header=BB56_70 Depth=1
	v_mov_b32_e32 v4, s8
	s_mov_b64 s[16:17], 0
	s_mov_b32 s18, 0
	v_mov_b32_e32 v5, s9
.LBB56_72:                              ;   Parent Loop BB56_70 Depth=1
                                        ; =>  This Inner Loop Header: Depth=2
	v_mov_b32_e32 v18, s18
	ds_read2_b64 v[6:9], v18 offset1:1
	ds_read2_b64 v[10:13], v18 offset0:2 offset1:3
	ds_read2_b64 v[14:17], v18 offset0:4 offset1:5
	;; [unrolled: 1-line block ×3, first 2 shown]
	s_add_u32 s16, s16, 8
	s_waitcnt lgkmcnt(3)
	v_cmp_gt_i64_e32 vcc, v[2:3], v[8:9]
	v_cmp_gt_i64_e64 s[2:3], v[2:3], v[6:7]
	v_cndmask_b32_e64 v7, 0, 1, vcc
	s_waitcnt lgkmcnt(2)
	v_cmp_gt_i64_e32 vcc, v[2:3], v[10:11]
	v_cndmask_b32_e64 v6, 0, 1, s[2:3]
	v_cndmask_b32_e64 v8, 0, 1, vcc
	v_cmp_gt_i64_e32 vcc, v[2:3], v[12:13]
	s_addc_u32 s17, s17, 0
	v_cndmask_b32_e64 v9, 0, 1, vcc
	s_waitcnt lgkmcnt(1)
	v_cmp_gt_i64_e32 vcc, v[2:3], v[14:15]
	s_add_i32 s18, s18, 64
	v_cndmask_b32_e64 v10, 0, 1, vcc
	v_cmp_gt_i64_e32 vcc, v[2:3], v[16:17]
	s_cmp_eq_u64 s[10:11], s[16:17]
	v_cndmask_b32_e64 v11, 0, 1, vcc
	s_waitcnt lgkmcnt(0)
	v_cmp_gt_i64_e32 vcc, v[2:3], v[18:19]
	v_cndmask_b32_e64 v12, 0, 1, vcc
	v_cmp_gt_i64_e32 vcc, v[2:3], v[20:21]
	v_cndmask_b32_e64 v13, 0, 1, vcc
	v_add_co_u32_e32 v4, vcc, v4, v6
	v_addc_co_u32_e32 v5, vcc, 0, v5, vcc
	v_add_co_u32_e32 v4, vcc, v4, v7
	v_addc_co_u32_e32 v5, vcc, 0, v5, vcc
	v_add_co_u32_e32 v4, vcc, v4, v8
	v_addc_co_u32_e32 v5, vcc, 0, v5, vcc
	v_add_co_u32_e32 v4, vcc, v4, v9
	v_addc_co_u32_e32 v5, vcc, 0, v5, vcc
	v_add_co_u32_e32 v4, vcc, v4, v10
	v_addc_co_u32_e32 v5, vcc, 0, v5, vcc
	v_add_co_u32_e32 v4, vcc, v4, v11
	v_addc_co_u32_e32 v5, vcc, 0, v5, vcc
	v_add_co_u32_e32 v4, vcc, v4, v12
	v_addc_co_u32_e32 v5, vcc, 0, v5, vcc
	v_add_co_u32_e32 v4, vcc, v4, v13
	v_addc_co_u32_e32 v5, vcc, 0, v5, vcc
	s_cbranch_scc0 .LBB56_72
; %bb.73:                               ;   in Loop: Header=BB56_70 Depth=1
	s_mov_b64 s[2:3], s[10:11]
.LBB56_74:                              ;   in Loop: Header=BB56_70 Depth=1
	s_andn2_b64 vcc, exec, s[14:15]
	s_cbranch_vccnz .LBB56_69
; %bb.75:                               ;   in Loop: Header=BB56_70 Depth=1
	s_lshl_b32 s2, s2, 3
	s_add_i32 s16, s2, 0
	s_mov_b64 s[2:3], s[6:7]
.LBB56_76:                              ;   Parent Loop BB56_70 Depth=1
                                        ; =>  This Inner Loop Header: Depth=2
	v_mov_b32_e32 v6, s16
	ds_read_b64 v[6:7], v6
	s_add_i32 s16, s16, 8
	s_add_u32 s2, s2, -1
	s_addc_u32 s3, s3, -1
	s_cmp_lg_u64 s[2:3], 0
	s_waitcnt lgkmcnt(0)
	v_cmp_gt_i64_e32 vcc, v[2:3], v[6:7]
	v_cndmask_b32_e64 v6, 0, 1, vcc
	v_add_co_u32_e32 v4, vcc, v4, v6
	v_addc_co_u32_e32 v5, vcc, 0, v5, vcc
	s_cbranch_scc1 .LBB56_76
	s_branch .LBB56_69
.LBB56_77:
	s_endpgm
	.section	.rodata,"a",@progbits
	.p2align	6, 0x0
	.amdhsa_kernel _ZN9rocsparseL35csrgemm_symbolic_fill_block_per_rowILj512ELj32ELj1024ELj137ELj32EllEEvT5_PKS1_S3_PKT4_S3_S6_S3_S6_S3_S6_PS1_21rocsparse_index_base_S8_S8_S8_bb
		.amdhsa_group_segment_fixed_size 0
		.amdhsa_private_segment_fixed_size 0
		.amdhsa_kernarg_size 108
		.amdhsa_user_sgpr_count 6
		.amdhsa_user_sgpr_private_segment_buffer 1
		.amdhsa_user_sgpr_dispatch_ptr 0
		.amdhsa_user_sgpr_queue_ptr 0
		.amdhsa_user_sgpr_kernarg_segment_ptr 1
		.amdhsa_user_sgpr_dispatch_id 0
		.amdhsa_user_sgpr_flat_scratch_init 0
		.amdhsa_user_sgpr_private_segment_size 0
		.amdhsa_uses_dynamic_stack 0
		.amdhsa_system_sgpr_private_segment_wavefront_offset 0
		.amdhsa_system_sgpr_workgroup_id_x 1
		.amdhsa_system_sgpr_workgroup_id_y 0
		.amdhsa_system_sgpr_workgroup_id_z 0
		.amdhsa_system_sgpr_workgroup_info 0
		.amdhsa_system_vgpr_workitem_id 0
		.amdhsa_next_free_vgpr 22
		.amdhsa_next_free_sgpr 52
		.amdhsa_reserve_vcc 1
		.amdhsa_reserve_flat_scratch 0
		.amdhsa_float_round_mode_32 0
		.amdhsa_float_round_mode_16_64 0
		.amdhsa_float_denorm_mode_32 3
		.amdhsa_float_denorm_mode_16_64 3
		.amdhsa_dx10_clamp 1
		.amdhsa_ieee_mode 1
		.amdhsa_fp16_overflow 0
		.amdhsa_exception_fp_ieee_invalid_op 0
		.amdhsa_exception_fp_denorm_src 0
		.amdhsa_exception_fp_ieee_div_zero 0
		.amdhsa_exception_fp_ieee_overflow 0
		.amdhsa_exception_fp_ieee_underflow 0
		.amdhsa_exception_fp_ieee_inexact 0
		.amdhsa_exception_int_div_zero 0
	.end_amdhsa_kernel
	.section	.text._ZN9rocsparseL35csrgemm_symbolic_fill_block_per_rowILj512ELj32ELj1024ELj137ELj32EllEEvT5_PKS1_S3_PKT4_S3_S6_S3_S6_S3_S6_PS1_21rocsparse_index_base_S8_S8_S8_bb,"axG",@progbits,_ZN9rocsparseL35csrgemm_symbolic_fill_block_per_rowILj512ELj32ELj1024ELj137ELj32EllEEvT5_PKS1_S3_PKT4_S3_S6_S3_S6_S3_S6_PS1_21rocsparse_index_base_S8_S8_S8_bb,comdat
.Lfunc_end56:
	.size	_ZN9rocsparseL35csrgemm_symbolic_fill_block_per_rowILj512ELj32ELj1024ELj137ELj32EllEEvT5_PKS1_S3_PKT4_S3_S6_S3_S6_S3_S6_PS1_21rocsparse_index_base_S8_S8_S8_bb, .Lfunc_end56-_ZN9rocsparseL35csrgemm_symbolic_fill_block_per_rowILj512ELj32ELj1024ELj137ELj32EllEEvT5_PKS1_S3_PKT4_S3_S6_S3_S6_S3_S6_PS1_21rocsparse_index_base_S8_S8_S8_bb
                                        ; -- End function
	.set _ZN9rocsparseL35csrgemm_symbolic_fill_block_per_rowILj512ELj32ELj1024ELj137ELj32EllEEvT5_PKS1_S3_PKT4_S3_S6_S3_S6_S3_S6_PS1_21rocsparse_index_base_S8_S8_S8_bb.num_vgpr, 22
	.set _ZN9rocsparseL35csrgemm_symbolic_fill_block_per_rowILj512ELj32ELj1024ELj137ELj32EllEEvT5_PKS1_S3_PKT4_S3_S6_S3_S6_S3_S6_PS1_21rocsparse_index_base_S8_S8_S8_bb.num_agpr, 0
	.set _ZN9rocsparseL35csrgemm_symbolic_fill_block_per_rowILj512ELj32ELj1024ELj137ELj32EllEEvT5_PKS1_S3_PKT4_S3_S6_S3_S6_S3_S6_PS1_21rocsparse_index_base_S8_S8_S8_bb.numbered_sgpr, 52
	.set _ZN9rocsparseL35csrgemm_symbolic_fill_block_per_rowILj512ELj32ELj1024ELj137ELj32EllEEvT5_PKS1_S3_PKT4_S3_S6_S3_S6_S3_S6_PS1_21rocsparse_index_base_S8_S8_S8_bb.num_named_barrier, 0
	.set _ZN9rocsparseL35csrgemm_symbolic_fill_block_per_rowILj512ELj32ELj1024ELj137ELj32EllEEvT5_PKS1_S3_PKT4_S3_S6_S3_S6_S3_S6_PS1_21rocsparse_index_base_S8_S8_S8_bb.private_seg_size, 0
	.set _ZN9rocsparseL35csrgemm_symbolic_fill_block_per_rowILj512ELj32ELj1024ELj137ELj32EllEEvT5_PKS1_S3_PKT4_S3_S6_S3_S6_S3_S6_PS1_21rocsparse_index_base_S8_S8_S8_bb.uses_vcc, 1
	.set _ZN9rocsparseL35csrgemm_symbolic_fill_block_per_rowILj512ELj32ELj1024ELj137ELj32EllEEvT5_PKS1_S3_PKT4_S3_S6_S3_S6_S3_S6_PS1_21rocsparse_index_base_S8_S8_S8_bb.uses_flat_scratch, 0
	.set _ZN9rocsparseL35csrgemm_symbolic_fill_block_per_rowILj512ELj32ELj1024ELj137ELj32EllEEvT5_PKS1_S3_PKT4_S3_S6_S3_S6_S3_S6_PS1_21rocsparse_index_base_S8_S8_S8_bb.has_dyn_sized_stack, 0
	.set _ZN9rocsparseL35csrgemm_symbolic_fill_block_per_rowILj512ELj32ELj1024ELj137ELj32EllEEvT5_PKS1_S3_PKT4_S3_S6_S3_S6_S3_S6_PS1_21rocsparse_index_base_S8_S8_S8_bb.has_recursion, 0
	.set _ZN9rocsparseL35csrgemm_symbolic_fill_block_per_rowILj512ELj32ELj1024ELj137ELj32EllEEvT5_PKS1_S3_PKT4_S3_S6_S3_S6_S3_S6_PS1_21rocsparse_index_base_S8_S8_S8_bb.has_indirect_call, 0
	.section	.AMDGPU.csdata,"",@progbits
; Kernel info:
; codeLenInByte = 2692
; TotalNumSgprs: 56
; NumVgprs: 22
; ScratchSize: 0
; MemoryBound: 0
; FloatMode: 240
; IeeeMode: 1
; LDSByteSize: 0 bytes/workgroup (compile time only)
; SGPRBlocks: 6
; VGPRBlocks: 5
; NumSGPRsForWavesPerEU: 56
; NumVGPRsForWavesPerEU: 22
; Occupancy: 10
; WaveLimiterHint : 1
; COMPUTE_PGM_RSRC2:SCRATCH_EN: 0
; COMPUTE_PGM_RSRC2:USER_SGPR: 6
; COMPUTE_PGM_RSRC2:TRAP_HANDLER: 0
; COMPUTE_PGM_RSRC2:TGID_X_EN: 1
; COMPUTE_PGM_RSRC2:TGID_Y_EN: 0
; COMPUTE_PGM_RSRC2:TGID_Z_EN: 0
; COMPUTE_PGM_RSRC2:TIDIG_COMP_CNT: 0
	.section	.text._ZN9rocsparseL35csrgemm_symbolic_fill_block_per_rowILj512ELj32ELj1024ELj137ELj64EllEEvT5_PKS1_S3_PKT4_S3_S6_S3_S6_S3_S6_PS1_21rocsparse_index_base_S8_S8_S8_bb,"axG",@progbits,_ZN9rocsparseL35csrgemm_symbolic_fill_block_per_rowILj512ELj32ELj1024ELj137ELj64EllEEvT5_PKS1_S3_PKT4_S3_S6_S3_S6_S3_S6_PS1_21rocsparse_index_base_S8_S8_S8_bb,comdat
	.globl	_ZN9rocsparseL35csrgemm_symbolic_fill_block_per_rowILj512ELj32ELj1024ELj137ELj64EllEEvT5_PKS1_S3_PKT4_S3_S6_S3_S6_S3_S6_PS1_21rocsparse_index_base_S8_S8_S8_bb ; -- Begin function _ZN9rocsparseL35csrgemm_symbolic_fill_block_per_rowILj512ELj32ELj1024ELj137ELj64EllEEvT5_PKS1_S3_PKT4_S3_S6_S3_S6_S3_S6_PS1_21rocsparse_index_base_S8_S8_S8_bb
	.p2align	8
	.type	_ZN9rocsparseL35csrgemm_symbolic_fill_block_per_rowILj512ELj32ELj1024ELj137ELj64EllEEvT5_PKS1_S3_PKT4_S3_S6_S3_S6_S3_S6_PS1_21rocsparse_index_base_S8_S8_S8_bb,@function
_ZN9rocsparseL35csrgemm_symbolic_fill_block_per_rowILj512ELj32ELj1024ELj137ELj64EllEEvT5_PKS1_S3_PKT4_S3_S6_S3_S6_S3_S6_PS1_21rocsparse_index_base_S8_S8_S8_bb: ; @_ZN9rocsparseL35csrgemm_symbolic_fill_block_per_rowILj512ELj32ELj1024ELj137ELj64EllEEvT5_PKS1_S3_PKT4_S3_S6_S3_S6_S3_S6_PS1_21rocsparse_index_base_S8_S8_S8_bb
; %bb.0:
	s_load_dwordx2 s[34:35], s[4:5], 0x50
	s_load_dwordx4 s[28:31], s[4:5], 0x40
	s_load_dwordx8 s[16:23], s[4:5], 0x0
	s_load_dwordx8 s[8:15], s[4:5], 0x20
	v_or_b32_e32 v11, 0xfffffe00, v0
	v_lshl_add_u32 v12, v0, 3, 0
	s_mov_b64 s[0:1], 0
	s_waitcnt lgkmcnt(0)
	v_mov_b32_e32 v1, s16
	v_mov_b32_e32 v2, s17
	;; [unrolled: 1-line block ×4, first 2 shown]
.LBB57_1:                               ; =>This Inner Loop Header: Depth=1
	v_add_co_u32_e32 v4, vcc, 0x200, v4
	s_xor_b64 s[2:3], vcc, -1
	s_and_b64 s[2:3], exec, s[2:3]
	ds_write_b64 v3, v[1:2]
	s_or_b64 s[0:1], s[2:3], s[0:1]
	v_add_u32_e32 v3, 0x1000, v3
	s_andn2_b64 exec, exec, s[0:1]
	s_cbranch_execnz .LBB57_1
; %bb.2:
	s_or_b64 exec, exec, s[0:1]
	s_load_dword s33, s[4:5], 0x68
	s_waitcnt lgkmcnt(0)
	s_barrier
	s_load_dwordx2 s[0:1], s[18:19], 0x0
	s_load_dwordx4 s[24:27], s[4:5], 0x58
	s_bitcmp1_b32 s33, 0
	s_cselect_b64 s[2:3], -1, 0
	s_mov_b32 s7, 0
	s_waitcnt lgkmcnt(0)
	s_lshl_b64 s[0:1], s[0:1], 3
	s_add_u32 s4, s20, s0
	s_addc_u32 s5, s21, s1
	s_lshl_b64 s[0:1], s[6:7], 3
	s_add_u32 s0, s4, s0
	s_addc_u32 s1, s5, s1
	s_load_dwordx2 s[18:19], s[0:1], 0x0
	s_and_b64 vcc, exec, s[2:3]
	s_cbranch_vccz .LBB57_18
; %bb.3:
	s_waitcnt lgkmcnt(0)
	s_lshl_b64 s[0:1], s[18:19], 3
	s_add_u32 s0, s22, s0
	s_addc_u32 s1, s23, s1
	s_load_dwordx4 s[4:7], s[0:1], 0x0
	v_lshrrev_b32_e32 v1, 5, v0
	v_subrev_co_u32_e32 v1, vcc, s24, v1
	v_subb_co_u32_e64 v2, s[2:3], 0, 0, vcc
	s_waitcnt lgkmcnt(0)
	s_sub_u32 s0, s6, s24
	v_mov_b32_e32 v3, s5
	v_add_co_u32_e32 v1, vcc, s4, v1
	s_subb_u32 s1, s7, 0
	v_addc_co_u32_e32 v2, vcc, v3, v2, vcc
	v_cmp_gt_i64_e32 vcc, s[0:1], v[1:2]
	s_and_saveexec_b64 s[2:3], vcc
	s_cbranch_execz .LBB57_17
; %bb.4:
	v_and_b32_e32 v3, 31, v0
	v_subrev_co_u32_e32 v13, vcc, s25, v3
	v_subb_co_u32_e64 v14, s[4:5], 0, 0, vcc
	s_mov_b32 s44, s25
	s_mov_b64 s[4:5], 0
	v_mov_b32_e32 v15, s9
	v_mov_b32_e32 v16, s11
	s_movk_i32 s9, 0x89
	s_branch .LBB57_6
.LBB57_5:                               ;   in Loop: Header=BB57_6 Depth=1
	s_or_b64 exec, exec, s[6:7]
	v_add_co_u32_e32 v1, vcc, 16, v1
	v_addc_co_u32_e32 v2, vcc, 0, v2, vcc
	v_cmp_le_i64_e32 vcc, s[0:1], v[1:2]
	s_or_b64 s[4:5], vcc, s[4:5]
	s_andn2_b64 exec, exec, s[4:5]
	s_cbranch_execz .LBB57_17
.LBB57_6:                               ; =>This Loop Header: Depth=1
                                        ;     Child Loop BB57_9 Depth 2
                                        ;       Child Loop BB57_12 Depth 3
	v_lshlrev_b64 v[3:4], 3, v[1:2]
	v_add_co_u32_e32 v3, vcc, s8, v3
	v_addc_co_u32_e32 v4, vcc, v15, v4, vcc
	global_load_dwordx2 v[3:4], v[3:4], off
	s_waitcnt vmcnt(0)
	v_subrev_co_u32_e32 v3, vcc, s24, v3
	v_subbrev_co_u32_e32 v4, vcc, 0, v4, vcc
	v_lshlrev_b64 v[3:4], 3, v[3:4]
	v_add_co_u32_e32 v3, vcc, s10, v3
	v_addc_co_u32_e32 v4, vcc, v16, v4, vcc
	global_load_dwordx4 v[5:8], v[3:4], off
	s_waitcnt vmcnt(0)
	v_subrev_co_u32_e32 v3, vcc, s44, v7
	v_subbrev_co_u32_e32 v4, vcc, 0, v8, vcc
	v_add_co_u32_e32 v5, vcc, v5, v13
	v_addc_co_u32_e32 v6, vcc, v6, v14, vcc
	v_cmp_lt_i64_e32 vcc, v[5:6], v[3:4]
	s_and_saveexec_b64 s[6:7], vcc
	s_cbranch_execz .LBB57_5
; %bb.7:                                ;   in Loop: Header=BB57_6 Depth=1
	s_mov_b64 s[20:21], 0
	s_branch .LBB57_9
.LBB57_8:                               ;   in Loop: Header=BB57_9 Depth=2
	s_or_b64 exec, exec, s[22:23]
	v_add_co_u32_e32 v5, vcc, 32, v5
	v_addc_co_u32_e32 v6, vcc, 0, v6, vcc
	v_cmp_ge_i64_e32 vcc, v[5:6], v[3:4]
	s_or_b64 s[20:21], vcc, s[20:21]
	s_andn2_b64 exec, exec, s[20:21]
	s_cbranch_execz .LBB57_5
.LBB57_9:                               ;   Parent Loop BB57_6 Depth=1
                                        ; =>  This Loop Header: Depth=2
                                        ;       Child Loop BB57_12 Depth 3
	v_lshlrev_b64 v[7:8], 3, v[5:6]
	v_mov_b32_e32 v9, s13
	v_add_co_u32_e32 v7, vcc, s12, v7
	v_addc_co_u32_e32 v8, vcc, v9, v8, vcc
	global_load_dwordx2 v[7:8], v[7:8], off
	s_mov_b64 s[22:23], 0
                                        ; implicit-def: $sgpr36_sgpr37
	s_waitcnt vmcnt(0)
	v_subrev_co_u32_e32 v7, vcc, s44, v7
	v_mul_lo_u32 v9, v7, s9
	v_subbrev_co_u32_e32 v8, vcc, 0, v8, vcc
	v_and_b32_e32 v17, 0x3ff, v9
	s_branch .LBB57_12
.LBB57_10:                              ;   in Loop: Header=BB57_12 Depth=3
	s_or_b64 exec, exec, s[40:41]
	s_andn2_b64 s[36:37], s[36:37], exec
	s_and_b64 s[40:41], s[42:43], exec
	s_or_b64 s[36:37], s[36:37], s[40:41]
.LBB57_11:                              ;   in Loop: Header=BB57_12 Depth=3
	s_or_b64 exec, exec, s[38:39]
	s_xor_b64 s[38:39], s[36:37], -1
	s_and_b64 s[38:39], exec, s[38:39]
	s_or_b64 s[22:23], s[38:39], s[22:23]
	s_andn2_b64 exec, exec, s[22:23]
	s_cbranch_execz .LBB57_8
.LBB57_12:                              ;   Parent Loop BB57_6 Depth=1
                                        ;     Parent Loop BB57_9 Depth=2
                                        ; =>    This Inner Loop Header: Depth=3
	v_lshl_add_u32 v18, v17, 3, 0
	ds_read_b64 v[9:10], v18
	s_andn2_b64 s[36:37], s[36:37], exec
	s_waitcnt lgkmcnt(0)
	v_cmp_ne_u64_e32 vcc, v[9:10], v[7:8]
	s_and_saveexec_b64 s[38:39], vcc
	s_cbranch_execz .LBB57_11
; %bb.13:                               ;   in Loop: Header=BB57_12 Depth=3
	v_cmp_ne_u64_e32 vcc, s[16:17], v[9:10]
	s_and_saveexec_b64 s[40:41], vcc
	s_xor_b64 s[40:41], exec, s[40:41]
; %bb.14:                               ;   in Loop: Header=BB57_12 Depth=3
	v_add_u32_e32 v9, 1, v17
	v_and_b32_e32 v17, 0x3ff, v9
                                        ; implicit-def: $vgpr18
; %bb.15:                               ;   in Loop: Header=BB57_12 Depth=3
	s_or_saveexec_b64 s[40:41], s[40:41]
	s_mov_b64 s[42:43], -1
	s_xor_b64 exec, exec, s[40:41]
	s_cbranch_execz .LBB57_10
; %bb.16:                               ;   in Loop: Header=BB57_12 Depth=3
	v_mov_b32_e32 v9, s16
	v_mov_b32_e32 v10, s17
	ds_cmpst_rtn_b64 v[9:10], v18, v[9:10], v[7:8]
	s_waitcnt lgkmcnt(0)
	v_cmp_ne_u64_e32 vcc, s[16:17], v[9:10]
	s_orn2_b64 s[42:43], vcc, exec
	s_branch .LBB57_10
.LBB57_17:
	s_or_b64 exec, exec, s[2:3]
.LBB57_18:
	s_bfe_u32 s0, s33, 0x10008
	s_cmp_eq_u32 s0, 0
	s_cbranch_scc1 .LBB57_31
; %bb.19:
	s_waitcnt lgkmcnt(0)
	s_lshl_b64 s[0:1], s[18:19], 3
	s_add_u32 s0, s14, s0
	s_addc_u32 s1, s15, s1
	s_load_dwordx4 s[4:7], s[0:1], 0x0
	v_subrev_co_u32_e32 v1, vcc, s27, v0
	v_subb_co_u32_e64 v2, s[0:1], 0, 0, vcc
	s_waitcnt lgkmcnt(0)
	s_sub_u32 s0, s6, s27
	v_mov_b32_e32 v3, s5
	v_add_co_u32_e32 v1, vcc, s4, v1
	s_subb_u32 s1, s7, 0
	v_addc_co_u32_e32 v2, vcc, v3, v2, vcc
	v_cmp_gt_i64_e32 vcc, s[0:1], v[1:2]
	s_and_saveexec_b64 s[2:3], vcc
	s_cbranch_execz .LBB57_30
; %bb.20:
	s_mov_b32 s20, s27
	s_mov_b64 s[4:5], 0
	v_mov_b32_e32 v7, s29
	s_movk_i32 s21, 0x89
	s_branch .LBB57_22
.LBB57_21:                              ;   in Loop: Header=BB57_22 Depth=1
	s_or_b64 exec, exec, s[6:7]
	v_add_co_u32_e32 v1, vcc, 0x200, v1
	v_addc_co_u32_e32 v2, vcc, 0, v2, vcc
	v_cmp_le_i64_e32 vcc, s[0:1], v[1:2]
	s_or_b64 s[4:5], vcc, s[4:5]
	s_andn2_b64 exec, exec, s[4:5]
	s_cbranch_execz .LBB57_30
.LBB57_22:                              ; =>This Loop Header: Depth=1
                                        ;     Child Loop BB57_25 Depth 2
	v_lshlrev_b64 v[3:4], 3, v[1:2]
	s_mov_b64 s[6:7], 0
	v_add_co_u32_e32 v3, vcc, s28, v3
	v_addc_co_u32_e32 v4, vcc, v7, v4, vcc
	global_load_dwordx2 v[3:4], v[3:4], off
                                        ; implicit-def: $sgpr8_sgpr9
	s_waitcnt vmcnt(0)
	v_subrev_co_u32_e32 v3, vcc, s20, v3
	v_mul_lo_u32 v5, v3, s21
	v_subbrev_co_u32_e32 v4, vcc, 0, v4, vcc
	v_and_b32_e32 v8, 0x3ff, v5
	s_branch .LBB57_25
.LBB57_23:                              ;   in Loop: Header=BB57_25 Depth=2
	s_or_b64 exec, exec, s[12:13]
	s_andn2_b64 s[8:9], s[8:9], exec
	s_and_b64 s[12:13], s[14:15], exec
	s_or_b64 s[8:9], s[8:9], s[12:13]
.LBB57_24:                              ;   in Loop: Header=BB57_25 Depth=2
	s_or_b64 exec, exec, s[10:11]
	s_xor_b64 s[10:11], s[8:9], -1
	s_and_b64 s[10:11], exec, s[10:11]
	s_or_b64 s[6:7], s[10:11], s[6:7]
	s_andn2_b64 exec, exec, s[6:7]
	s_cbranch_execz .LBB57_21
.LBB57_25:                              ;   Parent Loop BB57_22 Depth=1
                                        ; =>  This Inner Loop Header: Depth=2
	v_lshl_add_u32 v9, v8, 3, 0
	ds_read_b64 v[5:6], v9
	s_andn2_b64 s[8:9], s[8:9], exec
	s_waitcnt lgkmcnt(0)
	v_cmp_ne_u64_e32 vcc, v[5:6], v[3:4]
	s_and_saveexec_b64 s[10:11], vcc
	s_cbranch_execz .LBB57_24
; %bb.26:                               ;   in Loop: Header=BB57_25 Depth=2
	v_cmp_ne_u64_e32 vcc, s[16:17], v[5:6]
	s_and_saveexec_b64 s[12:13], vcc
	s_xor_b64 s[12:13], exec, s[12:13]
; %bb.27:                               ;   in Loop: Header=BB57_25 Depth=2
	v_add_u32_e32 v5, 1, v8
	v_and_b32_e32 v8, 0x3ff, v5
                                        ; implicit-def: $vgpr9
; %bb.28:                               ;   in Loop: Header=BB57_25 Depth=2
	s_or_saveexec_b64 s[12:13], s[12:13]
	s_mov_b64 s[14:15], -1
	s_xor_b64 exec, exec, s[12:13]
	s_cbranch_execz .LBB57_23
; %bb.29:                               ;   in Loop: Header=BB57_25 Depth=2
	v_mov_b32_e32 v5, s16
	v_mov_b32_e32 v6, s17
	ds_cmpst_rtn_b64 v[5:6], v9, v[5:6], v[3:4]
	s_waitcnt lgkmcnt(0)
	v_cmp_ne_u64_e32 vcc, s[16:17], v[5:6]
	s_orn2_b64 s[14:15], vcc, exec
	s_branch .LBB57_23
.LBB57_30:
	s_or_b64 exec, exec, s[2:3]
.LBB57_31:
	v_mbcnt_lo_u32_b32 v1, -1, 0
	v_mbcnt_hi_u32_b32 v1, -1, v1
	v_sub_u32_e32 v1, 63, v1
	v_lshrrev_b64 v[3:4], v1, -1
	v_lshrrev_b32_e32 v1, 3, v0
	v_and_b32_e32 v1, 56, v1
	s_movk_i32 s0, 0x1ff
	s_movk_i32 s4, 0x7f
	s_movk_i32 s6, 0xbf
	s_movk_i32 s8, 0xff
	s_movk_i32 s10, 0x13f
	s_movk_i32 s12, 0x17f
	s_movk_i32 s14, 0x1bf
	v_mov_b32_e32 v5, 0
	v_mov_b32_e32 v2, 0
	v_add_u32_e32 v13, 0, v1
	v_cmp_eq_u32_e64 s[0:1], s0, v0
	v_cmp_lt_u32_e64 s[2:3], 63, v0
	v_cmp_lt_u32_e64 s[4:5], s4, v0
	v_cmp_lt_u32_e64 s[6:7], s6, v0
	v_cmp_lt_u32_e64 s[8:9], s8, v0
	v_cmp_lt_u32_e64 s[10:11], s10, v0
	v_cmp_lt_u32_e64 s[12:13], s12, v0
	v_cmp_lt_u32_e64 s[14:15], s14, v0
	v_mov_b32_e32 v6, 0
	s_mov_b64 s[20:21], 0
	s_waitcnt lgkmcnt(0)
	s_barrier
	s_branch .LBB57_33
.LBB57_32:                              ;   in Loop: Header=BB57_33 Depth=1
	s_or_b64 exec, exec, s[22:23]
	s_waitcnt lgkmcnt(0)
	s_barrier
	ds_read_b64 v[7:8], v2 offset:8248
	v_add_u32_e32 v12, 0x1000, v12
	s_waitcnt lgkmcnt(0)
	v_add_co_u32_e32 v5, vcc, v7, v5
	v_addc_co_u32_e32 v6, vcc, v8, v6, vcc
	v_add_co_u32_e32 v11, vcc, 0x200, v11
	s_xor_b64 s[22:23], vcc, -1
	s_and_b64 s[22:23], exec, s[22:23]
	s_or_b64 s[20:21], s[22:23], s[20:21]
	s_andn2_b64 exec, exec, s[20:21]
	s_cbranch_execz .LBB57_51
.LBB57_33:                              ; =>This Inner Loop Header: Depth=1
	ds_read_b64 v[7:8], v12
	s_waitcnt lgkmcnt(0)
	s_barrier
	v_cmp_gt_i64_e32 vcc, s[16:17], v[7:8]
	v_and_b32_e32 v10, vcc_lo, v3
	s_bcnt1_i32_b64 s22, vcc
	v_and_b32_e32 v9, vcc_hi, v4
	v_bcnt_u32_b32 v10, v10, 0
	v_mov_b32_e32 v1, s22
	v_bcnt_u32_b32 v9, v9, v10
	ds_write_b64 v13, v[1:2] offset:8192
	s_waitcnt lgkmcnt(0)
	s_barrier
	s_and_saveexec_b64 s[22:23], s[2:3]
	s_cbranch_execnz .LBB57_42
; %bb.34:                               ;   in Loop: Header=BB57_33 Depth=1
	s_or_b64 exec, exec, s[22:23]
	s_and_saveexec_b64 s[22:23], s[4:5]
	s_cbranch_execnz .LBB57_43
.LBB57_35:                              ;   in Loop: Header=BB57_33 Depth=1
	s_or_b64 exec, exec, s[22:23]
	s_and_saveexec_b64 s[22:23], s[6:7]
	s_cbranch_execnz .LBB57_44
.LBB57_36:                              ;   in Loop: Header=BB57_33 Depth=1
	s_or_b64 exec, exec, s[22:23]
	s_and_saveexec_b64 s[22:23], s[8:9]
	s_cbranch_execnz .LBB57_45
.LBB57_37:                              ;   in Loop: Header=BB57_33 Depth=1
	s_or_b64 exec, exec, s[22:23]
	s_and_saveexec_b64 s[22:23], s[10:11]
	s_cbranch_execnz .LBB57_46
.LBB57_38:                              ;   in Loop: Header=BB57_33 Depth=1
	s_or_b64 exec, exec, s[22:23]
	s_and_saveexec_b64 s[22:23], s[12:13]
	s_cbranch_execnz .LBB57_47
.LBB57_39:                              ;   in Loop: Header=BB57_33 Depth=1
	s_or_b64 exec, exec, s[22:23]
	s_and_saveexec_b64 s[22:23], s[14:15]
	s_cbranch_execnz .LBB57_48
.LBB57_40:                              ;   in Loop: Header=BB57_33 Depth=1
	s_or_b64 exec, exec, s[22:23]
	v_ashrrev_i32_e32 v10, 31, v9
	s_and_saveexec_b64 s[22:23], vcc
	s_cbranch_execnz .LBB57_49
.LBB57_41:                              ;   in Loop: Header=BB57_33 Depth=1
	s_or_b64 exec, exec, s[22:23]
	s_and_saveexec_b64 s[22:23], s[0:1]
	s_cbranch_execz .LBB57_32
	s_branch .LBB57_50
.LBB57_42:                              ;   in Loop: Header=BB57_33 Depth=1
	ds_read_b32 v1, v2 offset:8192
	s_waitcnt lgkmcnt(0)
	v_add_u32_e32 v9, v1, v9
	s_or_b64 exec, exec, s[22:23]
	s_and_saveexec_b64 s[22:23], s[4:5]
	s_cbranch_execz .LBB57_35
.LBB57_43:                              ;   in Loop: Header=BB57_33 Depth=1
	ds_read_b32 v1, v2 offset:8200
	s_waitcnt lgkmcnt(0)
	v_add_u32_e32 v9, v9, v1
	s_or_b64 exec, exec, s[22:23]
	s_and_saveexec_b64 s[22:23], s[6:7]
	s_cbranch_execz .LBB57_36
.LBB57_44:                              ;   in Loop: Header=BB57_33 Depth=1
	ds_read_b32 v1, v2 offset:8208
	s_waitcnt lgkmcnt(0)
	v_add_u32_e32 v9, v9, v1
	s_or_b64 exec, exec, s[22:23]
	s_and_saveexec_b64 s[22:23], s[8:9]
	s_cbranch_execz .LBB57_37
.LBB57_45:                              ;   in Loop: Header=BB57_33 Depth=1
	ds_read_b32 v1, v2 offset:8216
	s_waitcnt lgkmcnt(0)
	v_add_u32_e32 v9, v9, v1
	s_or_b64 exec, exec, s[22:23]
	s_and_saveexec_b64 s[22:23], s[10:11]
	s_cbranch_execz .LBB57_38
.LBB57_46:                              ;   in Loop: Header=BB57_33 Depth=1
	ds_read_b32 v1, v2 offset:8224
	s_waitcnt lgkmcnt(0)
	v_add_u32_e32 v9, v9, v1
	s_or_b64 exec, exec, s[22:23]
	s_and_saveexec_b64 s[22:23], s[12:13]
	s_cbranch_execz .LBB57_39
.LBB57_47:                              ;   in Loop: Header=BB57_33 Depth=1
	ds_read_b32 v1, v2 offset:8232
	s_waitcnt lgkmcnt(0)
	v_add_u32_e32 v9, v9, v1
	s_or_b64 exec, exec, s[22:23]
	s_and_saveexec_b64 s[22:23], s[14:15]
	s_cbranch_execz .LBB57_40
.LBB57_48:                              ;   in Loop: Header=BB57_33 Depth=1
	ds_read_b32 v1, v2 offset:8240
	s_waitcnt lgkmcnt(0)
	v_add_u32_e32 v9, v9, v1
	s_or_b64 exec, exec, s[22:23]
	v_ashrrev_i32_e32 v10, 31, v9
	s_and_saveexec_b64 s[22:23], vcc
	s_cbranch_execz .LBB57_41
.LBB57_49:                              ;   in Loop: Header=BB57_33 Depth=1
	v_lshlrev_b32_e32 v1, 3, v5
	v_add_u32_e32 v1, 0, v1
	v_lshlrev_b32_e32 v14, 3, v9
	v_add3_u32 v1, v1, v14, -8
	ds_write_b64 v1, v[7:8]
	s_or_b64 exec, exec, s[22:23]
	s_and_saveexec_b64 s[22:23], s[0:1]
	s_cbranch_execz .LBB57_32
.LBB57_50:                              ;   in Loop: Header=BB57_33 Depth=1
	ds_write_b64 v2, v[9:10] offset:8248
	s_branch .LBB57_32
.LBB57_51:
	s_or_b64 exec, exec, s[20:21]
	s_lshl_b64 s[0:1], s[18:19], 3
	s_add_u32 s4, s30, s0
	s_addc_u32 s5, s31, s1
	s_load_dwordx4 s[0:3], s[4:5], 0x0
	v_mov_b32_e32 v1, 0
	s_waitcnt lgkmcnt(0)
	s_sub_u32 s4, s2, s0
	s_subb_u32 s5, s3, s1
	v_cmp_gt_i64_e32 vcc, s[4:5], v[0:1]
	s_and_saveexec_b64 s[6:7], vcc
	s_cbranch_execz .LBB57_61
; %bb.52:
	s_sub_u32 s8, s0, s26
	s_subb_u32 s9, s1, 0
	s_and_b32 s6, s4, 7
	s_sub_u32 s0, s0, s2
	s_subb_u32 s1, s1, s3
	v_cmp_lt_u64_e64 s[0:1], s[0:1], -7
	s_mov_b32 s7, 0
	s_and_b32 s10, s4, -8
	s_cmp_lg_u64 s[6:7], 0
	v_cndmask_b32_e64 v2, 0, 1, s[0:1]
	s_mov_b32 s11, s5
	s_mov_b64 s[12:13], 0
	s_cselect_b64 s[14:15], -1, 0
	v_cmp_ne_u32_e64 s[0:1], 1, v2
	s_branch .LBB57_54
.LBB57_53:                              ;   in Loop: Header=BB57_54 Depth=1
	s_waitcnt lgkmcnt(0)
	v_add_co_u32_e32 v2, vcc, s26, v2
	v_addc_co_u32_e32 v3, vcc, 0, v3, vcc
	v_add_co_u32_e32 v0, vcc, 0x200, v0
	v_lshlrev_b64 v[4:5], 3, v[4:5]
	v_addc_co_u32_e32 v1, vcc, 0, v1, vcc
	v_cmp_le_i64_e32 vcc, s[4:5], v[0:1]
	v_mov_b32_e32 v6, s35
	v_add_co_u32_e64 v4, s[2:3], s34, v4
	v_addc_co_u32_e64 v5, s[2:3], v6, v5, s[2:3]
	s_or_b64 s[12:13], vcc, s[12:13]
	global_store_dwordx2 v[4:5], v[2:3], off
	s_andn2_b64 exec, exec, s[12:13]
	s_cbranch_execz .LBB57_61
.LBB57_54:                              ; =>This Loop Header: Depth=1
                                        ;     Child Loop BB57_56 Depth 2
                                        ;     Child Loop BB57_60 Depth 2
	v_lshl_add_u32 v2, v0, 3, 0
	ds_read_b64 v[2:3], v2
	v_mov_b32_e32 v4, s8
	s_and_b64 vcc, exec, s[0:1]
	v_mov_b32_e32 v5, s9
	s_mov_b64 s[2:3], 0
	s_cbranch_vccnz .LBB57_58
; %bb.55:                               ;   in Loop: Header=BB57_54 Depth=1
	v_mov_b32_e32 v4, s8
	s_mov_b64 s[16:17], 0
	s_mov_b32 s18, 0
	v_mov_b32_e32 v5, s9
.LBB57_56:                              ;   Parent Loop BB57_54 Depth=1
                                        ; =>  This Inner Loop Header: Depth=2
	v_mov_b32_e32 v18, s18
	ds_read2_b64 v[6:9], v18 offset1:1
	ds_read2_b64 v[10:13], v18 offset0:2 offset1:3
	ds_read2_b64 v[14:17], v18 offset0:4 offset1:5
	;; [unrolled: 1-line block ×3, first 2 shown]
	s_add_u32 s16, s16, 8
	s_waitcnt lgkmcnt(3)
	v_cmp_gt_i64_e32 vcc, v[2:3], v[8:9]
	v_cmp_gt_i64_e64 s[2:3], v[2:3], v[6:7]
	v_cndmask_b32_e64 v7, 0, 1, vcc
	s_waitcnt lgkmcnt(2)
	v_cmp_gt_i64_e32 vcc, v[2:3], v[10:11]
	v_cndmask_b32_e64 v6, 0, 1, s[2:3]
	v_cndmask_b32_e64 v8, 0, 1, vcc
	v_cmp_gt_i64_e32 vcc, v[2:3], v[12:13]
	s_addc_u32 s17, s17, 0
	v_cndmask_b32_e64 v9, 0, 1, vcc
	s_waitcnt lgkmcnt(1)
	v_cmp_gt_i64_e32 vcc, v[2:3], v[14:15]
	s_add_i32 s18, s18, 64
	v_cndmask_b32_e64 v10, 0, 1, vcc
	v_cmp_gt_i64_e32 vcc, v[2:3], v[16:17]
	s_cmp_eq_u64 s[10:11], s[16:17]
	v_cndmask_b32_e64 v11, 0, 1, vcc
	s_waitcnt lgkmcnt(0)
	v_cmp_gt_i64_e32 vcc, v[2:3], v[18:19]
	v_cndmask_b32_e64 v12, 0, 1, vcc
	v_cmp_gt_i64_e32 vcc, v[2:3], v[20:21]
	v_cndmask_b32_e64 v13, 0, 1, vcc
	v_add_co_u32_e32 v4, vcc, v4, v6
	v_addc_co_u32_e32 v5, vcc, 0, v5, vcc
	v_add_co_u32_e32 v4, vcc, v4, v7
	v_addc_co_u32_e32 v5, vcc, 0, v5, vcc
	;; [unrolled: 2-line block ×8, first 2 shown]
	s_cbranch_scc0 .LBB57_56
; %bb.57:                               ;   in Loop: Header=BB57_54 Depth=1
	s_mov_b64 s[2:3], s[10:11]
.LBB57_58:                              ;   in Loop: Header=BB57_54 Depth=1
	s_andn2_b64 vcc, exec, s[14:15]
	s_cbranch_vccnz .LBB57_53
; %bb.59:                               ;   in Loop: Header=BB57_54 Depth=1
	s_lshl_b32 s2, s2, 3
	s_add_i32 s16, s2, 0
	s_mov_b64 s[2:3], s[6:7]
.LBB57_60:                              ;   Parent Loop BB57_54 Depth=1
                                        ; =>  This Inner Loop Header: Depth=2
	v_mov_b32_e32 v6, s16
	ds_read_b64 v[6:7], v6
	s_add_i32 s16, s16, 8
	s_add_u32 s2, s2, -1
	s_addc_u32 s3, s3, -1
	s_cmp_lg_u64 s[2:3], 0
	s_waitcnt lgkmcnt(0)
	v_cmp_gt_i64_e32 vcc, v[2:3], v[6:7]
	v_cndmask_b32_e64 v6, 0, 1, vcc
	v_add_co_u32_e32 v4, vcc, v4, v6
	v_addc_co_u32_e32 v5, vcc, 0, v5, vcc
	s_cbranch_scc1 .LBB57_60
	s_branch .LBB57_53
.LBB57_61:
	s_endpgm
	.section	.rodata,"a",@progbits
	.p2align	6, 0x0
	.amdhsa_kernel _ZN9rocsparseL35csrgemm_symbolic_fill_block_per_rowILj512ELj32ELj1024ELj137ELj64EllEEvT5_PKS1_S3_PKT4_S3_S6_S3_S6_S3_S6_PS1_21rocsparse_index_base_S8_S8_S8_bb
		.amdhsa_group_segment_fixed_size 0
		.amdhsa_private_segment_fixed_size 0
		.amdhsa_kernarg_size 108
		.amdhsa_user_sgpr_count 6
		.amdhsa_user_sgpr_private_segment_buffer 1
		.amdhsa_user_sgpr_dispatch_ptr 0
		.amdhsa_user_sgpr_queue_ptr 0
		.amdhsa_user_sgpr_kernarg_segment_ptr 1
		.amdhsa_user_sgpr_dispatch_id 0
		.amdhsa_user_sgpr_flat_scratch_init 0
		.amdhsa_user_sgpr_private_segment_size 0
		.amdhsa_uses_dynamic_stack 0
		.amdhsa_system_sgpr_private_segment_wavefront_offset 0
		.amdhsa_system_sgpr_workgroup_id_x 1
		.amdhsa_system_sgpr_workgroup_id_y 0
		.amdhsa_system_sgpr_workgroup_id_z 0
		.amdhsa_system_sgpr_workgroup_info 0
		.amdhsa_system_vgpr_workitem_id 0
		.amdhsa_next_free_vgpr 22
		.amdhsa_next_free_sgpr 45
		.amdhsa_reserve_vcc 1
		.amdhsa_reserve_flat_scratch 0
		.amdhsa_float_round_mode_32 0
		.amdhsa_float_round_mode_16_64 0
		.amdhsa_float_denorm_mode_32 3
		.amdhsa_float_denorm_mode_16_64 3
		.amdhsa_dx10_clamp 1
		.amdhsa_ieee_mode 1
		.amdhsa_fp16_overflow 0
		.amdhsa_exception_fp_ieee_invalid_op 0
		.amdhsa_exception_fp_denorm_src 0
		.amdhsa_exception_fp_ieee_div_zero 0
		.amdhsa_exception_fp_ieee_overflow 0
		.amdhsa_exception_fp_ieee_underflow 0
		.amdhsa_exception_fp_ieee_inexact 0
		.amdhsa_exception_int_div_zero 0
	.end_amdhsa_kernel
	.section	.text._ZN9rocsparseL35csrgemm_symbolic_fill_block_per_rowILj512ELj32ELj1024ELj137ELj64EllEEvT5_PKS1_S3_PKT4_S3_S6_S3_S6_S3_S6_PS1_21rocsparse_index_base_S8_S8_S8_bb,"axG",@progbits,_ZN9rocsparseL35csrgemm_symbolic_fill_block_per_rowILj512ELj32ELj1024ELj137ELj64EllEEvT5_PKS1_S3_PKT4_S3_S6_S3_S6_S3_S6_PS1_21rocsparse_index_base_S8_S8_S8_bb,comdat
.Lfunc_end57:
	.size	_ZN9rocsparseL35csrgemm_symbolic_fill_block_per_rowILj512ELj32ELj1024ELj137ELj64EllEEvT5_PKS1_S3_PKT4_S3_S6_S3_S6_S3_S6_PS1_21rocsparse_index_base_S8_S8_S8_bb, .Lfunc_end57-_ZN9rocsparseL35csrgemm_symbolic_fill_block_per_rowILj512ELj32ELj1024ELj137ELj64EllEEvT5_PKS1_S3_PKT4_S3_S6_S3_S6_S3_S6_PS1_21rocsparse_index_base_S8_S8_S8_bb
                                        ; -- End function
	.set _ZN9rocsparseL35csrgemm_symbolic_fill_block_per_rowILj512ELj32ELj1024ELj137ELj64EllEEvT5_PKS1_S3_PKT4_S3_S6_S3_S6_S3_S6_PS1_21rocsparse_index_base_S8_S8_S8_bb.num_vgpr, 22
	.set _ZN9rocsparseL35csrgemm_symbolic_fill_block_per_rowILj512ELj32ELj1024ELj137ELj64EllEEvT5_PKS1_S3_PKT4_S3_S6_S3_S6_S3_S6_PS1_21rocsparse_index_base_S8_S8_S8_bb.num_agpr, 0
	.set _ZN9rocsparseL35csrgemm_symbolic_fill_block_per_rowILj512ELj32ELj1024ELj137ELj64EllEEvT5_PKS1_S3_PKT4_S3_S6_S3_S6_S3_S6_PS1_21rocsparse_index_base_S8_S8_S8_bb.numbered_sgpr, 45
	.set _ZN9rocsparseL35csrgemm_symbolic_fill_block_per_rowILj512ELj32ELj1024ELj137ELj64EllEEvT5_PKS1_S3_PKT4_S3_S6_S3_S6_S3_S6_PS1_21rocsparse_index_base_S8_S8_S8_bb.num_named_barrier, 0
	.set _ZN9rocsparseL35csrgemm_symbolic_fill_block_per_rowILj512ELj32ELj1024ELj137ELj64EllEEvT5_PKS1_S3_PKT4_S3_S6_S3_S6_S3_S6_PS1_21rocsparse_index_base_S8_S8_S8_bb.private_seg_size, 0
	.set _ZN9rocsparseL35csrgemm_symbolic_fill_block_per_rowILj512ELj32ELj1024ELj137ELj64EllEEvT5_PKS1_S3_PKT4_S3_S6_S3_S6_S3_S6_PS1_21rocsparse_index_base_S8_S8_S8_bb.uses_vcc, 1
	.set _ZN9rocsparseL35csrgemm_symbolic_fill_block_per_rowILj512ELj32ELj1024ELj137ELj64EllEEvT5_PKS1_S3_PKT4_S3_S6_S3_S6_S3_S6_PS1_21rocsparse_index_base_S8_S8_S8_bb.uses_flat_scratch, 0
	.set _ZN9rocsparseL35csrgemm_symbolic_fill_block_per_rowILj512ELj32ELj1024ELj137ELj64EllEEvT5_PKS1_S3_PKT4_S3_S6_S3_S6_S3_S6_PS1_21rocsparse_index_base_S8_S8_S8_bb.has_dyn_sized_stack, 0
	.set _ZN9rocsparseL35csrgemm_symbolic_fill_block_per_rowILj512ELj32ELj1024ELj137ELj64EllEEvT5_PKS1_S3_PKT4_S3_S6_S3_S6_S3_S6_PS1_21rocsparse_index_base_S8_S8_S8_bb.has_recursion, 0
	.set _ZN9rocsparseL35csrgemm_symbolic_fill_block_per_rowILj512ELj32ELj1024ELj137ELj64EllEEvT5_PKS1_S3_PKT4_S3_S6_S3_S6_S3_S6_PS1_21rocsparse_index_base_S8_S8_S8_bb.has_indirect_call, 0
	.section	.AMDGPU.csdata,"",@progbits
; Kernel info:
; codeLenInByte = 2284
; TotalNumSgprs: 49
; NumVgprs: 22
; ScratchSize: 0
; MemoryBound: 0
; FloatMode: 240
; IeeeMode: 1
; LDSByteSize: 0 bytes/workgroup (compile time only)
; SGPRBlocks: 6
; VGPRBlocks: 5
; NumSGPRsForWavesPerEU: 49
; NumVGPRsForWavesPerEU: 22
; Occupancy: 10
; WaveLimiterHint : 1
; COMPUTE_PGM_RSRC2:SCRATCH_EN: 0
; COMPUTE_PGM_RSRC2:USER_SGPR: 6
; COMPUTE_PGM_RSRC2:TRAP_HANDLER: 0
; COMPUTE_PGM_RSRC2:TGID_X_EN: 1
; COMPUTE_PGM_RSRC2:TGID_Y_EN: 0
; COMPUTE_PGM_RSRC2:TGID_Z_EN: 0
; COMPUTE_PGM_RSRC2:TIDIG_COMP_CNT: 0
	.section	.text._ZN9rocsparseL35csrgemm_symbolic_fill_block_per_rowILj1024ELj32ELj2048ELj137ELj32EllEEvT5_PKS1_S3_PKT4_S3_S6_S3_S6_S3_S6_PS1_21rocsparse_index_base_S8_S8_S8_bb,"axG",@progbits,_ZN9rocsparseL35csrgemm_symbolic_fill_block_per_rowILj1024ELj32ELj2048ELj137ELj32EllEEvT5_PKS1_S3_PKT4_S3_S6_S3_S6_S3_S6_PS1_21rocsparse_index_base_S8_S8_S8_bb,comdat
	.globl	_ZN9rocsparseL35csrgemm_symbolic_fill_block_per_rowILj1024ELj32ELj2048ELj137ELj32EllEEvT5_PKS1_S3_PKT4_S3_S6_S3_S6_S3_S6_PS1_21rocsparse_index_base_S8_S8_S8_bb ; -- Begin function _ZN9rocsparseL35csrgemm_symbolic_fill_block_per_rowILj1024ELj32ELj2048ELj137ELj32EllEEvT5_PKS1_S3_PKT4_S3_S6_S3_S6_S3_S6_PS1_21rocsparse_index_base_S8_S8_S8_bb
	.p2align	8
	.type	_ZN9rocsparseL35csrgemm_symbolic_fill_block_per_rowILj1024ELj32ELj2048ELj137ELj32EllEEvT5_PKS1_S3_PKT4_S3_S6_S3_S6_S3_S6_PS1_21rocsparse_index_base_S8_S8_S8_bb,@function
_ZN9rocsparseL35csrgemm_symbolic_fill_block_per_rowILj1024ELj32ELj2048ELj137ELj32EllEEvT5_PKS1_S3_PKT4_S3_S6_S3_S6_S3_S6_PS1_21rocsparse_index_base_S8_S8_S8_bb: ; @_ZN9rocsparseL35csrgemm_symbolic_fill_block_per_rowILj1024ELj32ELj2048ELj137ELj32EllEEvT5_PKS1_S3_PKT4_S3_S6_S3_S6_S3_S6_PS1_21rocsparse_index_base_S8_S8_S8_bb
; %bb.0:
	s_load_dwordx2 s[80:81], s[4:5], 0x50
	s_load_dwordx4 s[76:79], s[4:5], 0x40
	s_load_dwordx8 s[68:75], s[4:5], 0x0
	s_load_dwordx8 s[8:15], s[4:5], 0x20
	v_or_b32_e32 v11, 0xfffffc00, v0
	v_lshl_add_u32 v12, v0, 3, 0
	s_mov_b64 s[0:1], 0
	s_waitcnt lgkmcnt(0)
	v_mov_b32_e32 v1, s68
	v_mov_b32_e32 v2, s69
	;; [unrolled: 1-line block ×4, first 2 shown]
.LBB58_1:                               ; =>This Inner Loop Header: Depth=1
	v_add_co_u32_e32 v4, vcc, 0x400, v4
	s_xor_b64 s[2:3], vcc, -1
	s_and_b64 s[2:3], exec, s[2:3]
	ds_write_b64 v3, v[1:2]
	s_or_b64 s[0:1], s[2:3], s[0:1]
	v_add_u32_e32 v3, 0x2000, v3
	s_andn2_b64 exec, exec, s[0:1]
	s_cbranch_execnz .LBB58_1
; %bb.2:
	s_or_b64 exec, exec, s[0:1]
	s_load_dword s28, s[4:5], 0x68
	s_waitcnt lgkmcnt(0)
	s_barrier
	s_load_dwordx2 s[0:1], s[70:71], 0x0
	s_load_dwordx4 s[64:67], s[4:5], 0x58
	s_bitcmp1_b32 s28, 0
	s_cselect_b64 s[2:3], -1, 0
	s_mov_b32 s7, 0
	s_waitcnt lgkmcnt(0)
	s_lshl_b64 s[0:1], s[0:1], 3
	s_add_u32 s4, s72, s0
	s_addc_u32 s5, s73, s1
	s_lshl_b64 s[0:1], s[6:7], 3
	s_add_u32 s0, s4, s0
	s_addc_u32 s1, s5, s1
	s_load_dwordx2 s[70:71], s[0:1], 0x0
	v_lshrrev_b32_e32 v13, 5, v0
	s_and_b64 vcc, exec, s[2:3]
	s_cbranch_vccz .LBB58_18
; %bb.3:
	s_waitcnt lgkmcnt(0)
	s_lshl_b64 s[0:1], s[70:71], 3
	s_add_u32 s0, s74, s0
	s_addc_u32 s1, s75, s1
	s_load_dwordx4 s[4:7], s[0:1], 0x0
	v_subrev_co_u32_e32 v1, vcc, s64, v13
	v_subb_co_u32_e64 v2, s[0:1], 0, 0, vcc
	s_waitcnt lgkmcnt(0)
	s_sub_u32 s0, s6, s64
	v_mov_b32_e32 v3, s5
	v_add_co_u32_e32 v1, vcc, s4, v1
	s_subb_u32 s1, s7, 0
	v_addc_co_u32_e32 v2, vcc, v3, v2, vcc
	v_cmp_gt_i64_e32 vcc, s[0:1], v[1:2]
	s_and_saveexec_b64 s[2:3], vcc
	s_cbranch_execz .LBB58_17
; %bb.4:
	v_and_b32_e32 v3, 31, v0
	v_subrev_co_u32_e32 v14, vcc, s65, v3
	v_subb_co_u32_e64 v15, s[4:5], 0, 0, vcc
	s_mov_b32 s29, s65
	s_mov_b64 s[4:5], 0
	v_mov_b32_e32 v16, s9
	v_mov_b32_e32 v17, s11
	s_movk_i32 s9, 0x89
	s_branch .LBB58_6
.LBB58_5:                               ;   in Loop: Header=BB58_6 Depth=1
	s_or_b64 exec, exec, s[6:7]
	v_add_co_u32_e32 v1, vcc, 32, v1
	v_addc_co_u32_e32 v2, vcc, 0, v2, vcc
	v_cmp_le_i64_e32 vcc, s[0:1], v[1:2]
	s_or_b64 s[4:5], vcc, s[4:5]
	s_andn2_b64 exec, exec, s[4:5]
	s_cbranch_execz .LBB58_17
.LBB58_6:                               ; =>This Loop Header: Depth=1
                                        ;     Child Loop BB58_9 Depth 2
                                        ;       Child Loop BB58_12 Depth 3
	v_lshlrev_b64 v[3:4], 3, v[1:2]
	v_add_co_u32_e32 v3, vcc, s8, v3
	v_addc_co_u32_e32 v4, vcc, v16, v4, vcc
	global_load_dwordx2 v[3:4], v[3:4], off
	s_waitcnt vmcnt(0)
	v_subrev_co_u32_e32 v3, vcc, s64, v3
	v_subbrev_co_u32_e32 v4, vcc, 0, v4, vcc
	v_lshlrev_b64 v[3:4], 3, v[3:4]
	v_add_co_u32_e32 v3, vcc, s10, v3
	v_addc_co_u32_e32 v4, vcc, v17, v4, vcc
	global_load_dwordx4 v[5:8], v[3:4], off
	s_waitcnt vmcnt(0)
	v_subrev_co_u32_e32 v3, vcc, s29, v7
	v_subbrev_co_u32_e32 v4, vcc, 0, v8, vcc
	v_add_co_u32_e32 v5, vcc, v5, v14
	v_addc_co_u32_e32 v6, vcc, v6, v15, vcc
	v_cmp_lt_i64_e32 vcc, v[5:6], v[3:4]
	s_and_saveexec_b64 s[6:7], vcc
	s_cbranch_execz .LBB58_5
; %bb.7:                                ;   in Loop: Header=BB58_6 Depth=1
	s_mov_b64 s[16:17], 0
	s_branch .LBB58_9
.LBB58_8:                               ;   in Loop: Header=BB58_9 Depth=2
	s_or_b64 exec, exec, s[18:19]
	v_add_co_u32_e32 v5, vcc, 32, v5
	v_addc_co_u32_e32 v6, vcc, 0, v6, vcc
	v_cmp_ge_i64_e32 vcc, v[5:6], v[3:4]
	s_or_b64 s[16:17], vcc, s[16:17]
	s_andn2_b64 exec, exec, s[16:17]
	s_cbranch_execz .LBB58_5
.LBB58_9:                               ;   Parent Loop BB58_6 Depth=1
                                        ; =>  This Loop Header: Depth=2
                                        ;       Child Loop BB58_12 Depth 3
	v_lshlrev_b64 v[7:8], 3, v[5:6]
	v_mov_b32_e32 v9, s13
	v_add_co_u32_e32 v7, vcc, s12, v7
	v_addc_co_u32_e32 v8, vcc, v9, v8, vcc
	global_load_dwordx2 v[7:8], v[7:8], off
	s_mov_b64 s[18:19], 0
                                        ; implicit-def: $sgpr20_sgpr21
	s_waitcnt vmcnt(0)
	v_subrev_co_u32_e32 v7, vcc, s29, v7
	v_mul_lo_u32 v9, v7, s9
	v_subbrev_co_u32_e32 v8, vcc, 0, v8, vcc
	v_and_b32_e32 v18, 0x7ff, v9
	s_branch .LBB58_12
.LBB58_10:                              ;   in Loop: Header=BB58_12 Depth=3
	s_or_b64 exec, exec, s[24:25]
	s_andn2_b64 s[20:21], s[20:21], exec
	s_and_b64 s[24:25], s[26:27], exec
	s_or_b64 s[20:21], s[20:21], s[24:25]
.LBB58_11:                              ;   in Loop: Header=BB58_12 Depth=3
	s_or_b64 exec, exec, s[22:23]
	s_xor_b64 s[22:23], s[20:21], -1
	s_and_b64 s[22:23], exec, s[22:23]
	s_or_b64 s[18:19], s[22:23], s[18:19]
	s_andn2_b64 exec, exec, s[18:19]
	s_cbranch_execz .LBB58_8
.LBB58_12:                              ;   Parent Loop BB58_6 Depth=1
                                        ;     Parent Loop BB58_9 Depth=2
                                        ; =>    This Inner Loop Header: Depth=3
	v_lshl_add_u32 v19, v18, 3, 0
	ds_read_b64 v[9:10], v19
	s_andn2_b64 s[20:21], s[20:21], exec
	s_waitcnt lgkmcnt(0)
	v_cmp_ne_u64_e32 vcc, v[9:10], v[7:8]
	s_and_saveexec_b64 s[22:23], vcc
	s_cbranch_execz .LBB58_11
; %bb.13:                               ;   in Loop: Header=BB58_12 Depth=3
	v_cmp_ne_u64_e32 vcc, s[68:69], v[9:10]
	s_and_saveexec_b64 s[24:25], vcc
	s_xor_b64 s[24:25], exec, s[24:25]
; %bb.14:                               ;   in Loop: Header=BB58_12 Depth=3
	v_add_u32_e32 v9, 1, v18
	v_and_b32_e32 v18, 0x7ff, v9
                                        ; implicit-def: $vgpr19
; %bb.15:                               ;   in Loop: Header=BB58_12 Depth=3
	s_or_saveexec_b64 s[24:25], s[24:25]
	s_mov_b64 s[26:27], -1
	s_xor_b64 exec, exec, s[24:25]
	s_cbranch_execz .LBB58_10
; %bb.16:                               ;   in Loop: Header=BB58_12 Depth=3
	v_mov_b32_e32 v9, s68
	v_mov_b32_e32 v10, s69
	ds_cmpst_rtn_b64 v[9:10], v19, v[9:10], v[7:8]
	s_waitcnt lgkmcnt(0)
	v_cmp_ne_u64_e32 vcc, s[68:69], v[9:10]
	s_orn2_b64 s[26:27], vcc, exec
	s_branch .LBB58_10
.LBB58_17:
	s_or_b64 exec, exec, s[2:3]
.LBB58_18:
	s_bfe_u32 s0, s28, 0x10008
	s_cmp_eq_u32 s0, 0
	s_cbranch_scc1 .LBB58_31
; %bb.19:
	s_waitcnt lgkmcnt(0)
	s_lshl_b64 s[0:1], s[70:71], 3
	s_add_u32 s0, s14, s0
	s_addc_u32 s1, s15, s1
	s_load_dwordx4 s[4:7], s[0:1], 0x0
	v_subrev_co_u32_e32 v1, vcc, s67, v0
	v_subb_co_u32_e64 v2, s[0:1], 0, 0, vcc
	s_waitcnt lgkmcnt(0)
	s_sub_u32 s0, s6, s67
	v_mov_b32_e32 v3, s5
	v_add_co_u32_e32 v1, vcc, s4, v1
	s_subb_u32 s1, s7, 0
	v_addc_co_u32_e32 v2, vcc, v3, v2, vcc
	v_cmp_gt_i64_e32 vcc, s[0:1], v[1:2]
	s_and_saveexec_b64 s[2:3], vcc
	s_cbranch_execz .LBB58_30
; %bb.20:
	s_mov_b32 s16, s67
	s_mov_b64 s[4:5], 0
	v_mov_b32_e32 v7, s77
	s_movk_i32 s17, 0x89
	s_branch .LBB58_22
.LBB58_21:                              ;   in Loop: Header=BB58_22 Depth=1
	s_or_b64 exec, exec, s[6:7]
	v_add_co_u32_e32 v1, vcc, 0x400, v1
	v_addc_co_u32_e32 v2, vcc, 0, v2, vcc
	v_cmp_le_i64_e32 vcc, s[0:1], v[1:2]
	s_or_b64 s[4:5], vcc, s[4:5]
	s_andn2_b64 exec, exec, s[4:5]
	s_cbranch_execz .LBB58_30
.LBB58_22:                              ; =>This Loop Header: Depth=1
                                        ;     Child Loop BB58_25 Depth 2
	v_lshlrev_b64 v[3:4], 3, v[1:2]
	s_mov_b64 s[6:7], 0
	v_add_co_u32_e32 v3, vcc, s76, v3
	v_addc_co_u32_e32 v4, vcc, v7, v4, vcc
	global_load_dwordx2 v[3:4], v[3:4], off
                                        ; implicit-def: $sgpr8_sgpr9
	s_waitcnt vmcnt(0)
	v_subrev_co_u32_e32 v3, vcc, s16, v3
	v_mul_lo_u32 v5, v3, s17
	v_subbrev_co_u32_e32 v4, vcc, 0, v4, vcc
	v_and_b32_e32 v8, 0x7ff, v5
	s_branch .LBB58_25
.LBB58_23:                              ;   in Loop: Header=BB58_25 Depth=2
	s_or_b64 exec, exec, s[12:13]
	s_andn2_b64 s[8:9], s[8:9], exec
	s_and_b64 s[12:13], s[14:15], exec
	s_or_b64 s[8:9], s[8:9], s[12:13]
.LBB58_24:                              ;   in Loop: Header=BB58_25 Depth=2
	s_or_b64 exec, exec, s[10:11]
	s_xor_b64 s[10:11], s[8:9], -1
	s_and_b64 s[10:11], exec, s[10:11]
	s_or_b64 s[6:7], s[10:11], s[6:7]
	s_andn2_b64 exec, exec, s[6:7]
	s_cbranch_execz .LBB58_21
.LBB58_25:                              ;   Parent Loop BB58_22 Depth=1
                                        ; =>  This Inner Loop Header: Depth=2
	v_lshl_add_u32 v9, v8, 3, 0
	ds_read_b64 v[5:6], v9
	s_andn2_b64 s[8:9], s[8:9], exec
	s_waitcnt lgkmcnt(0)
	v_cmp_ne_u64_e32 vcc, v[5:6], v[3:4]
	s_and_saveexec_b64 s[10:11], vcc
	s_cbranch_execz .LBB58_24
; %bb.26:                               ;   in Loop: Header=BB58_25 Depth=2
	v_cmp_ne_u64_e32 vcc, s[68:69], v[5:6]
	s_and_saveexec_b64 s[12:13], vcc
	s_xor_b64 s[12:13], exec, s[12:13]
; %bb.27:                               ;   in Loop: Header=BB58_25 Depth=2
	v_add_u32_e32 v5, 1, v8
	v_and_b32_e32 v8, 0x7ff, v5
                                        ; implicit-def: $vgpr9
; %bb.28:                               ;   in Loop: Header=BB58_25 Depth=2
	s_or_saveexec_b64 s[12:13], s[12:13]
	s_mov_b64 s[14:15], -1
	s_xor_b64 exec, exec, s[12:13]
	s_cbranch_execz .LBB58_23
; %bb.29:                               ;   in Loop: Header=BB58_25 Depth=2
	v_mov_b32_e32 v5, s68
	v_mov_b32_e32 v6, s69
	ds_cmpst_rtn_b64 v[5:6], v9, v[5:6], v[3:4]
	s_waitcnt lgkmcnt(0)
	v_cmp_ne_u64_e32 vcc, s[68:69], v[5:6]
	s_orn2_b64 s[14:15], vcc, exec
	s_branch .LBB58_23
.LBB58_30:
	s_or_b64 exec, exec, s[2:3]
.LBB58_31:
	s_movk_i32 s33, 0x23f
	v_cmp_lt_u32_e64 s[34:35], s33, v0
	s_movk_i32 s33, 0x25f
	v_cmp_lt_u32_e64 s[36:37], s33, v0
	;; [unrolled: 2-line block ×9, first 2 shown]
	s_movk_i32 s33, 0x35f
	v_mbcnt_lo_u32_b32 v1, -1, 0
	v_cmp_lt_u32_e64 s[52:53], s33, v0
	s_movk_i32 s33, 0x37f
	v_mbcnt_hi_u32_b32 v1, -1, v1
	v_cmp_lt_u32_e64 s[54:55], s33, v0
	s_movk_i32 s33, 0x39f
	v_sub_u32_e32 v1, 63, v1
	v_cmp_lt_u32_e64 s[56:57], s33, v0
	s_movk_i32 s33, 0x3bf
	v_lshrrev_b64 v[3:4], v1, -1
	s_movk_i32 s0, 0x3ff
	s_movk_i32 s2, 0x5f
	;; [unrolled: 1-line block ×16, first 2 shown]
	v_cmp_lt_u32_e64 s[58:59], s33, v0
	s_movk_i32 s33, 0x3df
	v_mov_b32_e32 v5, 0
	v_mov_b32_e32 v2, 0
	v_lshl_add_u32 v13, v13, 3, 0
	v_cmp_eq_u32_e64 s[0:1], s0, v0
	v_cmp_lt_u32_e64 s[2:3], s2, v0
	v_cmp_lt_u32_e64 s[4:5], s4, v0
	;; [unrolled: 1-line block ×16, first 2 shown]
	v_mov_b32_e32 v6, 0
	v_cmp_lt_u32_e64 s[62:63], 31, v0
	v_cmp_lt_u32_e64 s[64:65], 63, v0
	s_mov_b64 s[72:73], 0
	s_waitcnt lgkmcnt(0)
	s_barrier
	s_branch .LBB58_33
.LBB58_32:                              ;   in Loop: Header=BB58_33 Depth=1
	s_or_b64 exec, exec, s[74:75]
	s_waitcnt lgkmcnt(0)
	s_barrier
	ds_read_b64 v[7:8], v2 offset:16632
	v_add_u32_e32 v12, 0x2000, v12
	s_waitcnt lgkmcnt(0)
	v_add_co_u32_e32 v5, vcc, v7, v5
	v_addc_co_u32_e32 v6, vcc, v8, v6, vcc
	v_add_co_u32_e32 v11, vcc, 0x400, v11
	s_xor_b64 s[74:75], vcc, -1
	s_and_b64 s[74:75], exec, s[74:75]
	s_or_b64 s[72:73], s[74:75], s[72:73]
	s_andn2_b64 exec, exec, s[72:73]
	s_cbranch_execz .LBB58_99
.LBB58_33:                              ; =>This Inner Loop Header: Depth=1
	ds_read_b64 v[7:8], v12
	s_waitcnt lgkmcnt(0)
	s_barrier
	v_cmp_gt_i64_e32 vcc, s[68:69], v[7:8]
	v_and_b32_e32 v10, vcc_lo, v3
	s_bcnt1_i32_b64 s33, vcc
	v_and_b32_e32 v9, vcc_hi, v4
	v_bcnt_u32_b32 v10, v10, 0
	v_mov_b32_e32 v1, s33
	v_bcnt_u32_b32 v9, v9, v10
	ds_write_b64 v13, v[1:2] offset:16384
	s_waitcnt lgkmcnt(0)
	s_barrier
	s_and_saveexec_b64 s[74:75], s[62:63]
	s_cbranch_execnz .LBB58_66
; %bb.34:                               ;   in Loop: Header=BB58_33 Depth=1
	s_or_b64 exec, exec, s[74:75]
	s_and_saveexec_b64 s[74:75], s[64:65]
	s_cbranch_execnz .LBB58_67
.LBB58_35:                              ;   in Loop: Header=BB58_33 Depth=1
	s_or_b64 exec, exec, s[74:75]
	s_and_saveexec_b64 s[74:75], s[2:3]
	s_cbranch_execnz .LBB58_68
.LBB58_36:                              ;   in Loop: Header=BB58_33 Depth=1
	s_or_b64 exec, exec, s[74:75]
	s_and_saveexec_b64 s[74:75], s[4:5]
	s_cbranch_execnz .LBB58_69
.LBB58_37:                              ;   in Loop: Header=BB58_33 Depth=1
	s_or_b64 exec, exec, s[74:75]
	s_and_saveexec_b64 s[74:75], s[6:7]
	s_cbranch_execnz .LBB58_70
.LBB58_38:                              ;   in Loop: Header=BB58_33 Depth=1
	s_or_b64 exec, exec, s[74:75]
	s_and_saveexec_b64 s[74:75], s[8:9]
	s_cbranch_execnz .LBB58_71
.LBB58_39:                              ;   in Loop: Header=BB58_33 Depth=1
	s_or_b64 exec, exec, s[74:75]
	s_and_saveexec_b64 s[74:75], s[10:11]
	s_cbranch_execnz .LBB58_72
.LBB58_40:                              ;   in Loop: Header=BB58_33 Depth=1
	s_or_b64 exec, exec, s[74:75]
	s_and_saveexec_b64 s[74:75], s[12:13]
	s_cbranch_execnz .LBB58_73
.LBB58_41:                              ;   in Loop: Header=BB58_33 Depth=1
	s_or_b64 exec, exec, s[74:75]
	s_and_saveexec_b64 s[74:75], s[14:15]
	s_cbranch_execnz .LBB58_74
.LBB58_42:                              ;   in Loop: Header=BB58_33 Depth=1
	s_or_b64 exec, exec, s[74:75]
	s_and_saveexec_b64 s[74:75], s[16:17]
	s_cbranch_execnz .LBB58_75
.LBB58_43:                              ;   in Loop: Header=BB58_33 Depth=1
	s_or_b64 exec, exec, s[74:75]
	s_and_saveexec_b64 s[74:75], s[18:19]
	s_cbranch_execnz .LBB58_76
.LBB58_44:                              ;   in Loop: Header=BB58_33 Depth=1
	s_or_b64 exec, exec, s[74:75]
	s_and_saveexec_b64 s[74:75], s[20:21]
	s_cbranch_execnz .LBB58_77
.LBB58_45:                              ;   in Loop: Header=BB58_33 Depth=1
	s_or_b64 exec, exec, s[74:75]
	s_and_saveexec_b64 s[74:75], s[22:23]
	s_cbranch_execnz .LBB58_78
.LBB58_46:                              ;   in Loop: Header=BB58_33 Depth=1
	s_or_b64 exec, exec, s[74:75]
	s_and_saveexec_b64 s[74:75], s[24:25]
	s_cbranch_execnz .LBB58_79
.LBB58_47:                              ;   in Loop: Header=BB58_33 Depth=1
	s_or_b64 exec, exec, s[74:75]
	s_and_saveexec_b64 s[74:75], s[26:27]
	s_cbranch_execnz .LBB58_80
.LBB58_48:                              ;   in Loop: Header=BB58_33 Depth=1
	s_or_b64 exec, exec, s[74:75]
	s_and_saveexec_b64 s[74:75], s[28:29]
	s_cbranch_execnz .LBB58_81
.LBB58_49:                              ;   in Loop: Header=BB58_33 Depth=1
	s_or_b64 exec, exec, s[74:75]
	s_and_saveexec_b64 s[74:75], s[30:31]
	s_cbranch_execnz .LBB58_82
.LBB58_50:                              ;   in Loop: Header=BB58_33 Depth=1
	s_or_b64 exec, exec, s[74:75]
	s_and_saveexec_b64 s[74:75], s[34:35]
	s_cbranch_execnz .LBB58_83
.LBB58_51:                              ;   in Loop: Header=BB58_33 Depth=1
	s_or_b64 exec, exec, s[74:75]
	s_and_saveexec_b64 s[74:75], s[36:37]
	s_cbranch_execnz .LBB58_84
.LBB58_52:                              ;   in Loop: Header=BB58_33 Depth=1
	s_or_b64 exec, exec, s[74:75]
	s_and_saveexec_b64 s[74:75], s[38:39]
	s_cbranch_execnz .LBB58_85
.LBB58_53:                              ;   in Loop: Header=BB58_33 Depth=1
	s_or_b64 exec, exec, s[74:75]
	s_and_saveexec_b64 s[74:75], s[40:41]
	s_cbranch_execnz .LBB58_86
.LBB58_54:                              ;   in Loop: Header=BB58_33 Depth=1
	s_or_b64 exec, exec, s[74:75]
	s_and_saveexec_b64 s[74:75], s[42:43]
	s_cbranch_execnz .LBB58_87
.LBB58_55:                              ;   in Loop: Header=BB58_33 Depth=1
	s_or_b64 exec, exec, s[74:75]
	s_and_saveexec_b64 s[74:75], s[44:45]
	s_cbranch_execnz .LBB58_88
.LBB58_56:                              ;   in Loop: Header=BB58_33 Depth=1
	s_or_b64 exec, exec, s[74:75]
	s_and_saveexec_b64 s[74:75], s[46:47]
	s_cbranch_execnz .LBB58_89
.LBB58_57:                              ;   in Loop: Header=BB58_33 Depth=1
	s_or_b64 exec, exec, s[74:75]
	s_and_saveexec_b64 s[74:75], s[48:49]
	s_cbranch_execnz .LBB58_90
.LBB58_58:                              ;   in Loop: Header=BB58_33 Depth=1
	s_or_b64 exec, exec, s[74:75]
	s_and_saveexec_b64 s[74:75], s[50:51]
	s_cbranch_execnz .LBB58_91
.LBB58_59:                              ;   in Loop: Header=BB58_33 Depth=1
	s_or_b64 exec, exec, s[74:75]
	s_and_saveexec_b64 s[74:75], s[52:53]
	s_cbranch_execnz .LBB58_92
.LBB58_60:                              ;   in Loop: Header=BB58_33 Depth=1
	s_or_b64 exec, exec, s[74:75]
	s_and_saveexec_b64 s[74:75], s[54:55]
	s_cbranch_execnz .LBB58_93
.LBB58_61:                              ;   in Loop: Header=BB58_33 Depth=1
	s_or_b64 exec, exec, s[74:75]
	s_and_saveexec_b64 s[74:75], s[56:57]
	s_cbranch_execnz .LBB58_94
.LBB58_62:                              ;   in Loop: Header=BB58_33 Depth=1
	s_or_b64 exec, exec, s[74:75]
	s_and_saveexec_b64 s[74:75], s[58:59]
	s_cbranch_execnz .LBB58_95
.LBB58_63:                              ;   in Loop: Header=BB58_33 Depth=1
	s_or_b64 exec, exec, s[74:75]
	s_and_saveexec_b64 s[74:75], s[60:61]
	s_cbranch_execnz .LBB58_96
.LBB58_64:                              ;   in Loop: Header=BB58_33 Depth=1
	s_or_b64 exec, exec, s[74:75]
	v_ashrrev_i32_e32 v10, 31, v9
	s_and_saveexec_b64 s[74:75], vcc
	s_cbranch_execnz .LBB58_97
.LBB58_65:                              ;   in Loop: Header=BB58_33 Depth=1
	s_or_b64 exec, exec, s[74:75]
	s_and_saveexec_b64 s[74:75], s[0:1]
	s_cbranch_execz .LBB58_32
	s_branch .LBB58_98
.LBB58_66:                              ;   in Loop: Header=BB58_33 Depth=1
	ds_read_b32 v1, v2 offset:16384
	s_waitcnt lgkmcnt(0)
	v_add_u32_e32 v9, v1, v9
	s_or_b64 exec, exec, s[74:75]
	s_and_saveexec_b64 s[74:75], s[64:65]
	s_cbranch_execz .LBB58_35
.LBB58_67:                              ;   in Loop: Header=BB58_33 Depth=1
	ds_read_b32 v1, v2 offset:16392
	s_waitcnt lgkmcnt(0)
	v_add_u32_e32 v9, v9, v1
	s_or_b64 exec, exec, s[74:75]
	s_and_saveexec_b64 s[74:75], s[2:3]
	s_cbranch_execz .LBB58_36
.LBB58_68:                              ;   in Loop: Header=BB58_33 Depth=1
	ds_read_b32 v1, v2 offset:16400
	s_waitcnt lgkmcnt(0)
	v_add_u32_e32 v9, v9, v1
	s_or_b64 exec, exec, s[74:75]
	s_and_saveexec_b64 s[74:75], s[4:5]
	s_cbranch_execz .LBB58_37
.LBB58_69:                              ;   in Loop: Header=BB58_33 Depth=1
	ds_read_b32 v1, v2 offset:16408
	s_waitcnt lgkmcnt(0)
	v_add_u32_e32 v9, v9, v1
	s_or_b64 exec, exec, s[74:75]
	s_and_saveexec_b64 s[74:75], s[6:7]
	s_cbranch_execz .LBB58_38
.LBB58_70:                              ;   in Loop: Header=BB58_33 Depth=1
	ds_read_b32 v1, v2 offset:16416
	s_waitcnt lgkmcnt(0)
	v_add_u32_e32 v9, v9, v1
	s_or_b64 exec, exec, s[74:75]
	s_and_saveexec_b64 s[74:75], s[8:9]
	s_cbranch_execz .LBB58_39
.LBB58_71:                              ;   in Loop: Header=BB58_33 Depth=1
	ds_read_b32 v1, v2 offset:16424
	s_waitcnt lgkmcnt(0)
	v_add_u32_e32 v9, v9, v1
	s_or_b64 exec, exec, s[74:75]
	s_and_saveexec_b64 s[74:75], s[10:11]
	s_cbranch_execz .LBB58_40
.LBB58_72:                              ;   in Loop: Header=BB58_33 Depth=1
	ds_read_b32 v1, v2 offset:16432
	s_waitcnt lgkmcnt(0)
	v_add_u32_e32 v9, v9, v1
	s_or_b64 exec, exec, s[74:75]
	s_and_saveexec_b64 s[74:75], s[12:13]
	s_cbranch_execz .LBB58_41
.LBB58_73:                              ;   in Loop: Header=BB58_33 Depth=1
	ds_read_b32 v1, v2 offset:16440
	s_waitcnt lgkmcnt(0)
	v_add_u32_e32 v9, v9, v1
	s_or_b64 exec, exec, s[74:75]
	s_and_saveexec_b64 s[74:75], s[14:15]
	s_cbranch_execz .LBB58_42
.LBB58_74:                              ;   in Loop: Header=BB58_33 Depth=1
	ds_read_b32 v1, v2 offset:16448
	s_waitcnt lgkmcnt(0)
	v_add_u32_e32 v9, v9, v1
	s_or_b64 exec, exec, s[74:75]
	s_and_saveexec_b64 s[74:75], s[16:17]
	s_cbranch_execz .LBB58_43
.LBB58_75:                              ;   in Loop: Header=BB58_33 Depth=1
	ds_read_b32 v1, v2 offset:16456
	s_waitcnt lgkmcnt(0)
	v_add_u32_e32 v9, v9, v1
	s_or_b64 exec, exec, s[74:75]
	s_and_saveexec_b64 s[74:75], s[18:19]
	s_cbranch_execz .LBB58_44
.LBB58_76:                              ;   in Loop: Header=BB58_33 Depth=1
	ds_read_b32 v1, v2 offset:16464
	s_waitcnt lgkmcnt(0)
	v_add_u32_e32 v9, v9, v1
	s_or_b64 exec, exec, s[74:75]
	s_and_saveexec_b64 s[74:75], s[20:21]
	s_cbranch_execz .LBB58_45
.LBB58_77:                              ;   in Loop: Header=BB58_33 Depth=1
	ds_read_b32 v1, v2 offset:16472
	s_waitcnt lgkmcnt(0)
	v_add_u32_e32 v9, v9, v1
	s_or_b64 exec, exec, s[74:75]
	s_and_saveexec_b64 s[74:75], s[22:23]
	s_cbranch_execz .LBB58_46
.LBB58_78:                              ;   in Loop: Header=BB58_33 Depth=1
	ds_read_b32 v1, v2 offset:16480
	s_waitcnt lgkmcnt(0)
	v_add_u32_e32 v9, v9, v1
	s_or_b64 exec, exec, s[74:75]
	s_and_saveexec_b64 s[74:75], s[24:25]
	s_cbranch_execz .LBB58_47
.LBB58_79:                              ;   in Loop: Header=BB58_33 Depth=1
	ds_read_b32 v1, v2 offset:16488
	s_waitcnt lgkmcnt(0)
	v_add_u32_e32 v9, v9, v1
	s_or_b64 exec, exec, s[74:75]
	s_and_saveexec_b64 s[74:75], s[26:27]
	s_cbranch_execz .LBB58_48
.LBB58_80:                              ;   in Loop: Header=BB58_33 Depth=1
	ds_read_b32 v1, v2 offset:16496
	s_waitcnt lgkmcnt(0)
	v_add_u32_e32 v9, v9, v1
	s_or_b64 exec, exec, s[74:75]
	s_and_saveexec_b64 s[74:75], s[28:29]
	s_cbranch_execz .LBB58_49
.LBB58_81:                              ;   in Loop: Header=BB58_33 Depth=1
	ds_read_b32 v1, v2 offset:16504
	s_waitcnt lgkmcnt(0)
	v_add_u32_e32 v9, v9, v1
	s_or_b64 exec, exec, s[74:75]
	s_and_saveexec_b64 s[74:75], s[30:31]
	s_cbranch_execz .LBB58_50
.LBB58_82:                              ;   in Loop: Header=BB58_33 Depth=1
	ds_read_b32 v1, v2 offset:16512
	s_waitcnt lgkmcnt(0)
	v_add_u32_e32 v9, v9, v1
	s_or_b64 exec, exec, s[74:75]
	s_and_saveexec_b64 s[74:75], s[34:35]
	s_cbranch_execz .LBB58_51
.LBB58_83:                              ;   in Loop: Header=BB58_33 Depth=1
	ds_read_b32 v1, v2 offset:16520
	s_waitcnt lgkmcnt(0)
	v_add_u32_e32 v9, v9, v1
	s_or_b64 exec, exec, s[74:75]
	s_and_saveexec_b64 s[74:75], s[36:37]
	s_cbranch_execz .LBB58_52
.LBB58_84:                              ;   in Loop: Header=BB58_33 Depth=1
	ds_read_b32 v1, v2 offset:16528
	s_waitcnt lgkmcnt(0)
	v_add_u32_e32 v9, v9, v1
	s_or_b64 exec, exec, s[74:75]
	s_and_saveexec_b64 s[74:75], s[38:39]
	s_cbranch_execz .LBB58_53
.LBB58_85:                              ;   in Loop: Header=BB58_33 Depth=1
	ds_read_b32 v1, v2 offset:16536
	s_waitcnt lgkmcnt(0)
	v_add_u32_e32 v9, v9, v1
	s_or_b64 exec, exec, s[74:75]
	s_and_saveexec_b64 s[74:75], s[40:41]
	s_cbranch_execz .LBB58_54
.LBB58_86:                              ;   in Loop: Header=BB58_33 Depth=1
	ds_read_b32 v1, v2 offset:16544
	s_waitcnt lgkmcnt(0)
	v_add_u32_e32 v9, v9, v1
	s_or_b64 exec, exec, s[74:75]
	s_and_saveexec_b64 s[74:75], s[42:43]
	s_cbranch_execz .LBB58_55
.LBB58_87:                              ;   in Loop: Header=BB58_33 Depth=1
	ds_read_b32 v1, v2 offset:16552
	s_waitcnt lgkmcnt(0)
	v_add_u32_e32 v9, v9, v1
	s_or_b64 exec, exec, s[74:75]
	s_and_saveexec_b64 s[74:75], s[44:45]
	s_cbranch_execz .LBB58_56
.LBB58_88:                              ;   in Loop: Header=BB58_33 Depth=1
	ds_read_b32 v1, v2 offset:16560
	s_waitcnt lgkmcnt(0)
	v_add_u32_e32 v9, v9, v1
	s_or_b64 exec, exec, s[74:75]
	s_and_saveexec_b64 s[74:75], s[46:47]
	s_cbranch_execz .LBB58_57
.LBB58_89:                              ;   in Loop: Header=BB58_33 Depth=1
	ds_read_b32 v1, v2 offset:16568
	s_waitcnt lgkmcnt(0)
	v_add_u32_e32 v9, v9, v1
	s_or_b64 exec, exec, s[74:75]
	s_and_saveexec_b64 s[74:75], s[48:49]
	s_cbranch_execz .LBB58_58
.LBB58_90:                              ;   in Loop: Header=BB58_33 Depth=1
	ds_read_b32 v1, v2 offset:16576
	s_waitcnt lgkmcnt(0)
	v_add_u32_e32 v9, v9, v1
	s_or_b64 exec, exec, s[74:75]
	s_and_saveexec_b64 s[74:75], s[50:51]
	s_cbranch_execz .LBB58_59
.LBB58_91:                              ;   in Loop: Header=BB58_33 Depth=1
	ds_read_b32 v1, v2 offset:16584
	s_waitcnt lgkmcnt(0)
	v_add_u32_e32 v9, v9, v1
	s_or_b64 exec, exec, s[74:75]
	s_and_saveexec_b64 s[74:75], s[52:53]
	s_cbranch_execz .LBB58_60
.LBB58_92:                              ;   in Loop: Header=BB58_33 Depth=1
	ds_read_b32 v1, v2 offset:16592
	s_waitcnt lgkmcnt(0)
	v_add_u32_e32 v9, v9, v1
	s_or_b64 exec, exec, s[74:75]
	s_and_saveexec_b64 s[74:75], s[54:55]
	s_cbranch_execz .LBB58_61
.LBB58_93:                              ;   in Loop: Header=BB58_33 Depth=1
	ds_read_b32 v1, v2 offset:16600
	s_waitcnt lgkmcnt(0)
	v_add_u32_e32 v9, v9, v1
	s_or_b64 exec, exec, s[74:75]
	s_and_saveexec_b64 s[74:75], s[56:57]
	s_cbranch_execz .LBB58_62
.LBB58_94:                              ;   in Loop: Header=BB58_33 Depth=1
	ds_read_b32 v1, v2 offset:16608
	s_waitcnt lgkmcnt(0)
	v_add_u32_e32 v9, v9, v1
	s_or_b64 exec, exec, s[74:75]
	s_and_saveexec_b64 s[74:75], s[58:59]
	s_cbranch_execz .LBB58_63
.LBB58_95:                              ;   in Loop: Header=BB58_33 Depth=1
	ds_read_b32 v1, v2 offset:16616
	s_waitcnt lgkmcnt(0)
	v_add_u32_e32 v9, v9, v1
	s_or_b64 exec, exec, s[74:75]
	s_and_saveexec_b64 s[74:75], s[60:61]
	s_cbranch_execz .LBB58_64
.LBB58_96:                              ;   in Loop: Header=BB58_33 Depth=1
	ds_read_b32 v1, v2 offset:16624
	s_waitcnt lgkmcnt(0)
	v_add_u32_e32 v9, v9, v1
	s_or_b64 exec, exec, s[74:75]
	v_ashrrev_i32_e32 v10, 31, v9
	s_and_saveexec_b64 s[74:75], vcc
	s_cbranch_execz .LBB58_65
.LBB58_97:                              ;   in Loop: Header=BB58_33 Depth=1
	v_lshlrev_b32_e32 v1, 3, v5
	v_add_u32_e32 v1, 0, v1
	v_lshlrev_b32_e32 v14, 3, v9
	v_add3_u32 v1, v1, v14, -8
	ds_write_b64 v1, v[7:8]
	s_or_b64 exec, exec, s[74:75]
	s_and_saveexec_b64 s[74:75], s[0:1]
	s_cbranch_execz .LBB58_32
.LBB58_98:                              ;   in Loop: Header=BB58_33 Depth=1
	ds_write_b64 v2, v[9:10] offset:16632
	s_branch .LBB58_32
.LBB58_99:
	s_or_b64 exec, exec, s[72:73]
	s_lshl_b64 s[0:1], s[70:71], 3
	s_add_u32 s4, s78, s0
	s_addc_u32 s5, s79, s1
	s_load_dwordx4 s[0:3], s[4:5], 0x0
	v_mov_b32_e32 v1, 0
	s_waitcnt lgkmcnt(0)
	s_sub_u32 s4, s2, s0
	s_subb_u32 s5, s3, s1
	v_cmp_gt_i64_e32 vcc, s[4:5], v[0:1]
	s_and_saveexec_b64 s[6:7], vcc
	s_cbranch_execz .LBB58_109
; %bb.100:
	s_sub_u32 s8, s0, s66
	s_subb_u32 s9, s1, 0
	s_and_b32 s6, s4, 7
	s_sub_u32 s0, s0, s2
	s_subb_u32 s1, s1, s3
	v_cmp_lt_u64_e64 s[0:1], s[0:1], -7
	s_mov_b32 s7, 0
	s_and_b32 s10, s4, -8
	s_cmp_lg_u64 s[6:7], 0
	v_cndmask_b32_e64 v2, 0, 1, s[0:1]
	s_mov_b32 s11, s5
	s_mov_b64 s[12:13], 0
	s_cselect_b64 s[14:15], -1, 0
	v_cmp_ne_u32_e64 s[0:1], 1, v2
	s_branch .LBB58_102
.LBB58_101:                             ;   in Loop: Header=BB58_102 Depth=1
	s_waitcnt lgkmcnt(0)
	v_add_co_u32_e32 v2, vcc, s66, v2
	v_addc_co_u32_e32 v3, vcc, 0, v3, vcc
	v_add_co_u32_e32 v0, vcc, 0x400, v0
	v_lshlrev_b64 v[4:5], 3, v[4:5]
	v_addc_co_u32_e32 v1, vcc, 0, v1, vcc
	v_cmp_le_i64_e32 vcc, s[4:5], v[0:1]
	v_mov_b32_e32 v6, s81
	v_add_co_u32_e64 v4, s[2:3], s80, v4
	v_addc_co_u32_e64 v5, s[2:3], v6, v5, s[2:3]
	s_or_b64 s[12:13], vcc, s[12:13]
	global_store_dwordx2 v[4:5], v[2:3], off
	s_andn2_b64 exec, exec, s[12:13]
	s_cbranch_execz .LBB58_109
.LBB58_102:                             ; =>This Loop Header: Depth=1
                                        ;     Child Loop BB58_104 Depth 2
                                        ;     Child Loop BB58_108 Depth 2
	v_lshl_add_u32 v2, v0, 3, 0
	ds_read_b64 v[2:3], v2
	v_mov_b32_e32 v4, s8
	s_and_b64 vcc, exec, s[0:1]
	v_mov_b32_e32 v5, s9
	s_mov_b64 s[2:3], 0
	s_cbranch_vccnz .LBB58_106
; %bb.103:                              ;   in Loop: Header=BB58_102 Depth=1
	v_mov_b32_e32 v4, s8
	s_mov_b64 s[16:17], 0
	s_mov_b32 s18, 0
	v_mov_b32_e32 v5, s9
.LBB58_104:                             ;   Parent Loop BB58_102 Depth=1
                                        ; =>  This Inner Loop Header: Depth=2
	v_mov_b32_e32 v18, s18
	ds_read2_b64 v[6:9], v18 offset1:1
	ds_read2_b64 v[10:13], v18 offset0:2 offset1:3
	ds_read2_b64 v[14:17], v18 offset0:4 offset1:5
	;; [unrolled: 1-line block ×3, first 2 shown]
	s_add_u32 s16, s16, 8
	s_waitcnt lgkmcnt(3)
	v_cmp_gt_i64_e32 vcc, v[2:3], v[8:9]
	v_cmp_gt_i64_e64 s[2:3], v[2:3], v[6:7]
	v_cndmask_b32_e64 v7, 0, 1, vcc
	s_waitcnt lgkmcnt(2)
	v_cmp_gt_i64_e32 vcc, v[2:3], v[10:11]
	v_cndmask_b32_e64 v6, 0, 1, s[2:3]
	v_cndmask_b32_e64 v8, 0, 1, vcc
	v_cmp_gt_i64_e32 vcc, v[2:3], v[12:13]
	s_addc_u32 s17, s17, 0
	v_cndmask_b32_e64 v9, 0, 1, vcc
	s_waitcnt lgkmcnt(1)
	v_cmp_gt_i64_e32 vcc, v[2:3], v[14:15]
	s_add_i32 s18, s18, 64
	v_cndmask_b32_e64 v10, 0, 1, vcc
	v_cmp_gt_i64_e32 vcc, v[2:3], v[16:17]
	s_cmp_eq_u64 s[10:11], s[16:17]
	v_cndmask_b32_e64 v11, 0, 1, vcc
	s_waitcnt lgkmcnt(0)
	v_cmp_gt_i64_e32 vcc, v[2:3], v[18:19]
	v_cndmask_b32_e64 v12, 0, 1, vcc
	v_cmp_gt_i64_e32 vcc, v[2:3], v[20:21]
	v_cndmask_b32_e64 v13, 0, 1, vcc
	v_add_co_u32_e32 v4, vcc, v4, v6
	v_addc_co_u32_e32 v5, vcc, 0, v5, vcc
	v_add_co_u32_e32 v4, vcc, v4, v7
	v_addc_co_u32_e32 v5, vcc, 0, v5, vcc
	;; [unrolled: 2-line block ×8, first 2 shown]
	s_cbranch_scc0 .LBB58_104
; %bb.105:                              ;   in Loop: Header=BB58_102 Depth=1
	s_mov_b64 s[2:3], s[10:11]
.LBB58_106:                             ;   in Loop: Header=BB58_102 Depth=1
	s_andn2_b64 vcc, exec, s[14:15]
	s_cbranch_vccnz .LBB58_101
; %bb.107:                              ;   in Loop: Header=BB58_102 Depth=1
	s_lshl_b32 s2, s2, 3
	s_add_i32 s16, s2, 0
	s_mov_b64 s[2:3], s[6:7]
.LBB58_108:                             ;   Parent Loop BB58_102 Depth=1
                                        ; =>  This Inner Loop Header: Depth=2
	v_mov_b32_e32 v6, s16
	ds_read_b64 v[6:7], v6
	s_add_i32 s16, s16, 8
	s_add_u32 s2, s2, -1
	s_addc_u32 s3, s3, -1
	s_cmp_lg_u64 s[2:3], 0
	s_waitcnt lgkmcnt(0)
	v_cmp_gt_i64_e32 vcc, v[2:3], v[6:7]
	v_cndmask_b32_e64 v6, 0, 1, vcc
	v_add_co_u32_e32 v4, vcc, v4, v6
	v_addc_co_u32_e32 v5, vcc, 0, v5, vcc
	s_cbranch_scc1 .LBB58_108
	s_branch .LBB58_101
.LBB58_109:
	s_endpgm
	.section	.rodata,"a",@progbits
	.p2align	6, 0x0
	.amdhsa_kernel _ZN9rocsparseL35csrgemm_symbolic_fill_block_per_rowILj1024ELj32ELj2048ELj137ELj32EllEEvT5_PKS1_S3_PKT4_S3_S6_S3_S6_S3_S6_PS1_21rocsparse_index_base_S8_S8_S8_bb
		.amdhsa_group_segment_fixed_size 0
		.amdhsa_private_segment_fixed_size 0
		.amdhsa_kernarg_size 108
		.amdhsa_user_sgpr_count 6
		.amdhsa_user_sgpr_private_segment_buffer 1
		.amdhsa_user_sgpr_dispatch_ptr 0
		.amdhsa_user_sgpr_queue_ptr 0
		.amdhsa_user_sgpr_kernarg_segment_ptr 1
		.amdhsa_user_sgpr_dispatch_id 0
		.amdhsa_user_sgpr_flat_scratch_init 0
		.amdhsa_user_sgpr_private_segment_size 0
		.amdhsa_uses_dynamic_stack 0
		.amdhsa_system_sgpr_private_segment_wavefront_offset 0
		.amdhsa_system_sgpr_workgroup_id_x 1
		.amdhsa_system_sgpr_workgroup_id_y 0
		.amdhsa_system_sgpr_workgroup_id_z 0
		.amdhsa_system_sgpr_workgroup_info 0
		.amdhsa_system_vgpr_workitem_id 0
		.amdhsa_next_free_vgpr 22
		.amdhsa_next_free_sgpr 82
		.amdhsa_reserve_vcc 1
		.amdhsa_reserve_flat_scratch 0
		.amdhsa_float_round_mode_32 0
		.amdhsa_float_round_mode_16_64 0
		.amdhsa_float_denorm_mode_32 3
		.amdhsa_float_denorm_mode_16_64 3
		.amdhsa_dx10_clamp 1
		.amdhsa_ieee_mode 1
		.amdhsa_fp16_overflow 0
		.amdhsa_exception_fp_ieee_invalid_op 0
		.amdhsa_exception_fp_denorm_src 0
		.amdhsa_exception_fp_ieee_div_zero 0
		.amdhsa_exception_fp_ieee_overflow 0
		.amdhsa_exception_fp_ieee_underflow 0
		.amdhsa_exception_fp_ieee_inexact 0
		.amdhsa_exception_int_div_zero 0
	.end_amdhsa_kernel
	.section	.text._ZN9rocsparseL35csrgemm_symbolic_fill_block_per_rowILj1024ELj32ELj2048ELj137ELj32EllEEvT5_PKS1_S3_PKT4_S3_S6_S3_S6_S3_S6_PS1_21rocsparse_index_base_S8_S8_S8_bb,"axG",@progbits,_ZN9rocsparseL35csrgemm_symbolic_fill_block_per_rowILj1024ELj32ELj2048ELj137ELj32EllEEvT5_PKS1_S3_PKT4_S3_S6_S3_S6_S3_S6_PS1_21rocsparse_index_base_S8_S8_S8_bb,comdat
.Lfunc_end58:
	.size	_ZN9rocsparseL35csrgemm_symbolic_fill_block_per_rowILj1024ELj32ELj2048ELj137ELj32EllEEvT5_PKS1_S3_PKT4_S3_S6_S3_S6_S3_S6_PS1_21rocsparse_index_base_S8_S8_S8_bb, .Lfunc_end58-_ZN9rocsparseL35csrgemm_symbolic_fill_block_per_rowILj1024ELj32ELj2048ELj137ELj32EllEEvT5_PKS1_S3_PKT4_S3_S6_S3_S6_S3_S6_PS1_21rocsparse_index_base_S8_S8_S8_bb
                                        ; -- End function
	.set _ZN9rocsparseL35csrgemm_symbolic_fill_block_per_rowILj1024ELj32ELj2048ELj137ELj32EllEEvT5_PKS1_S3_PKT4_S3_S6_S3_S6_S3_S6_PS1_21rocsparse_index_base_S8_S8_S8_bb.num_vgpr, 22
	.set _ZN9rocsparseL35csrgemm_symbolic_fill_block_per_rowILj1024ELj32ELj2048ELj137ELj32EllEEvT5_PKS1_S3_PKT4_S3_S6_S3_S6_S3_S6_PS1_21rocsparse_index_base_S8_S8_S8_bb.num_agpr, 0
	.set _ZN9rocsparseL35csrgemm_symbolic_fill_block_per_rowILj1024ELj32ELj2048ELj137ELj32EllEEvT5_PKS1_S3_PKT4_S3_S6_S3_S6_S3_S6_PS1_21rocsparse_index_base_S8_S8_S8_bb.numbered_sgpr, 82
	.set _ZN9rocsparseL35csrgemm_symbolic_fill_block_per_rowILj1024ELj32ELj2048ELj137ELj32EllEEvT5_PKS1_S3_PKT4_S3_S6_S3_S6_S3_S6_PS1_21rocsparse_index_base_S8_S8_S8_bb.num_named_barrier, 0
	.set _ZN9rocsparseL35csrgemm_symbolic_fill_block_per_rowILj1024ELj32ELj2048ELj137ELj32EllEEvT5_PKS1_S3_PKT4_S3_S6_S3_S6_S3_S6_PS1_21rocsparse_index_base_S8_S8_S8_bb.private_seg_size, 0
	.set _ZN9rocsparseL35csrgemm_symbolic_fill_block_per_rowILj1024ELj32ELj2048ELj137ELj32EllEEvT5_PKS1_S3_PKT4_S3_S6_S3_S6_S3_S6_PS1_21rocsparse_index_base_S8_S8_S8_bb.uses_vcc, 1
	.set _ZN9rocsparseL35csrgemm_symbolic_fill_block_per_rowILj1024ELj32ELj2048ELj137ELj32EllEEvT5_PKS1_S3_PKT4_S3_S6_S3_S6_S3_S6_PS1_21rocsparse_index_base_S8_S8_S8_bb.uses_flat_scratch, 0
	.set _ZN9rocsparseL35csrgemm_symbolic_fill_block_per_rowILj1024ELj32ELj2048ELj137ELj32EllEEvT5_PKS1_S3_PKT4_S3_S6_S3_S6_S3_S6_PS1_21rocsparse_index_base_S8_S8_S8_bb.has_dyn_sized_stack, 0
	.set _ZN9rocsparseL35csrgemm_symbolic_fill_block_per_rowILj1024ELj32ELj2048ELj137ELj32EllEEvT5_PKS1_S3_PKT4_S3_S6_S3_S6_S3_S6_PS1_21rocsparse_index_base_S8_S8_S8_bb.has_recursion, 0
	.set _ZN9rocsparseL35csrgemm_symbolic_fill_block_per_rowILj1024ELj32ELj2048ELj137ELj32EllEEvT5_PKS1_S3_PKT4_S3_S6_S3_S6_S3_S6_PS1_21rocsparse_index_base_S8_S8_S8_bb.has_indirect_call, 0
	.section	.AMDGPU.csdata,"",@progbits
; Kernel info:
; codeLenInByte = 3524
; TotalNumSgprs: 86
; NumVgprs: 22
; ScratchSize: 0
; MemoryBound: 0
; FloatMode: 240
; IeeeMode: 1
; LDSByteSize: 0 bytes/workgroup (compile time only)
; SGPRBlocks: 10
; VGPRBlocks: 5
; NumSGPRsForWavesPerEU: 86
; NumVGPRsForWavesPerEU: 22
; Occupancy: 9
; WaveLimiterHint : 1
; COMPUTE_PGM_RSRC2:SCRATCH_EN: 0
; COMPUTE_PGM_RSRC2:USER_SGPR: 6
; COMPUTE_PGM_RSRC2:TRAP_HANDLER: 0
; COMPUTE_PGM_RSRC2:TGID_X_EN: 1
; COMPUTE_PGM_RSRC2:TGID_Y_EN: 0
; COMPUTE_PGM_RSRC2:TGID_Z_EN: 0
; COMPUTE_PGM_RSRC2:TIDIG_COMP_CNT: 0
	.section	.text._ZN9rocsparseL35csrgemm_symbolic_fill_block_per_rowILj1024ELj32ELj2048ELj137ELj64EllEEvT5_PKS1_S3_PKT4_S3_S6_S3_S6_S3_S6_PS1_21rocsparse_index_base_S8_S8_S8_bb,"axG",@progbits,_ZN9rocsparseL35csrgemm_symbolic_fill_block_per_rowILj1024ELj32ELj2048ELj137ELj64EllEEvT5_PKS1_S3_PKT4_S3_S6_S3_S6_S3_S6_PS1_21rocsparse_index_base_S8_S8_S8_bb,comdat
	.globl	_ZN9rocsparseL35csrgemm_symbolic_fill_block_per_rowILj1024ELj32ELj2048ELj137ELj64EllEEvT5_PKS1_S3_PKT4_S3_S6_S3_S6_S3_S6_PS1_21rocsparse_index_base_S8_S8_S8_bb ; -- Begin function _ZN9rocsparseL35csrgemm_symbolic_fill_block_per_rowILj1024ELj32ELj2048ELj137ELj64EllEEvT5_PKS1_S3_PKT4_S3_S6_S3_S6_S3_S6_PS1_21rocsparse_index_base_S8_S8_S8_bb
	.p2align	8
	.type	_ZN9rocsparseL35csrgemm_symbolic_fill_block_per_rowILj1024ELj32ELj2048ELj137ELj64EllEEvT5_PKS1_S3_PKT4_S3_S6_S3_S6_S3_S6_PS1_21rocsparse_index_base_S8_S8_S8_bb,@function
_ZN9rocsparseL35csrgemm_symbolic_fill_block_per_rowILj1024ELj32ELj2048ELj137ELj64EllEEvT5_PKS1_S3_PKT4_S3_S6_S3_S6_S3_S6_PS1_21rocsparse_index_base_S8_S8_S8_bb: ; @_ZN9rocsparseL35csrgemm_symbolic_fill_block_per_rowILj1024ELj32ELj2048ELj137ELj64EllEEvT5_PKS1_S3_PKT4_S3_S6_S3_S6_S3_S6_PS1_21rocsparse_index_base_S8_S8_S8_bb
; %bb.0:
	s_load_dwordx2 s[34:35], s[4:5], 0x50
	s_load_dwordx4 s[48:51], s[4:5], 0x40
	s_load_dwordx8 s[36:43], s[4:5], 0x0
	s_load_dwordx8 s[8:15], s[4:5], 0x20
	v_or_b32_e32 v11, 0xfffffc00, v0
	v_lshl_add_u32 v12, v0, 3, 0
	s_mov_b64 s[0:1], 0
	s_waitcnt lgkmcnt(0)
	v_mov_b32_e32 v1, s36
	v_mov_b32_e32 v2, s37
	;; [unrolled: 1-line block ×4, first 2 shown]
.LBB59_1:                               ; =>This Inner Loop Header: Depth=1
	v_add_co_u32_e32 v4, vcc, 0x400, v4
	s_xor_b64 s[2:3], vcc, -1
	s_and_b64 s[2:3], exec, s[2:3]
	ds_write_b64 v3, v[1:2]
	s_or_b64 s[0:1], s[2:3], s[0:1]
	v_add_u32_e32 v3, 0x2000, v3
	s_andn2_b64 exec, exec, s[0:1]
	s_cbranch_execnz .LBB59_1
; %bb.2:
	s_or_b64 exec, exec, s[0:1]
	s_load_dword s28, s[4:5], 0x68
	s_waitcnt lgkmcnt(0)
	s_barrier
	s_load_dwordx2 s[0:1], s[38:39], 0x0
	s_load_dwordx4 s[44:47], s[4:5], 0x58
	s_bitcmp1_b32 s28, 0
	s_cselect_b64 s[2:3], -1, 0
	s_mov_b32 s7, 0
	s_waitcnt lgkmcnt(0)
	s_lshl_b64 s[0:1], s[0:1], 3
	s_add_u32 s4, s40, s0
	s_addc_u32 s5, s41, s1
	s_lshl_b64 s[0:1], s[6:7], 3
	s_add_u32 s0, s4, s0
	s_addc_u32 s1, s5, s1
	s_load_dwordx2 s[38:39], s[0:1], 0x0
	s_and_b64 vcc, exec, s[2:3]
	s_cbranch_vccz .LBB59_18
; %bb.3:
	s_waitcnt lgkmcnt(0)
	s_lshl_b64 s[0:1], s[38:39], 3
	s_add_u32 s0, s42, s0
	s_addc_u32 s1, s43, s1
	s_load_dwordx4 s[4:7], s[0:1], 0x0
	v_lshrrev_b32_e32 v1, 5, v0
	v_subrev_co_u32_e32 v1, vcc, s44, v1
	v_subb_co_u32_e64 v2, s[2:3], 0, 0, vcc
	s_waitcnt lgkmcnt(0)
	s_sub_u32 s0, s6, s44
	v_mov_b32_e32 v3, s5
	v_add_co_u32_e32 v1, vcc, s4, v1
	s_subb_u32 s1, s7, 0
	v_addc_co_u32_e32 v2, vcc, v3, v2, vcc
	v_cmp_gt_i64_e32 vcc, s[0:1], v[1:2]
	s_and_saveexec_b64 s[2:3], vcc
	s_cbranch_execz .LBB59_17
; %bb.4:
	v_and_b32_e32 v3, 31, v0
	v_subrev_co_u32_e32 v13, vcc, s45, v3
	v_subb_co_u32_e64 v14, s[4:5], 0, 0, vcc
	s_mov_b32 s29, s45
	s_mov_b64 s[4:5], 0
	v_mov_b32_e32 v15, s9
	v_mov_b32_e32 v16, s11
	s_movk_i32 s9, 0x89
	s_branch .LBB59_6
.LBB59_5:                               ;   in Loop: Header=BB59_6 Depth=1
	s_or_b64 exec, exec, s[6:7]
	v_add_co_u32_e32 v1, vcc, 32, v1
	v_addc_co_u32_e32 v2, vcc, 0, v2, vcc
	v_cmp_le_i64_e32 vcc, s[0:1], v[1:2]
	s_or_b64 s[4:5], vcc, s[4:5]
	s_andn2_b64 exec, exec, s[4:5]
	s_cbranch_execz .LBB59_17
.LBB59_6:                               ; =>This Loop Header: Depth=1
                                        ;     Child Loop BB59_9 Depth 2
                                        ;       Child Loop BB59_12 Depth 3
	v_lshlrev_b64 v[3:4], 3, v[1:2]
	v_add_co_u32_e32 v3, vcc, s8, v3
	v_addc_co_u32_e32 v4, vcc, v15, v4, vcc
	global_load_dwordx2 v[3:4], v[3:4], off
	s_waitcnt vmcnt(0)
	v_subrev_co_u32_e32 v3, vcc, s44, v3
	v_subbrev_co_u32_e32 v4, vcc, 0, v4, vcc
	v_lshlrev_b64 v[3:4], 3, v[3:4]
	v_add_co_u32_e32 v3, vcc, s10, v3
	v_addc_co_u32_e32 v4, vcc, v16, v4, vcc
	global_load_dwordx4 v[5:8], v[3:4], off
	s_waitcnt vmcnt(0)
	v_subrev_co_u32_e32 v3, vcc, s29, v7
	v_subbrev_co_u32_e32 v4, vcc, 0, v8, vcc
	v_add_co_u32_e32 v5, vcc, v5, v13
	v_addc_co_u32_e32 v6, vcc, v6, v14, vcc
	v_cmp_lt_i64_e32 vcc, v[5:6], v[3:4]
	s_and_saveexec_b64 s[6:7], vcc
	s_cbranch_execz .LBB59_5
; %bb.7:                                ;   in Loop: Header=BB59_6 Depth=1
	s_mov_b64 s[16:17], 0
	s_branch .LBB59_9
.LBB59_8:                               ;   in Loop: Header=BB59_9 Depth=2
	s_or_b64 exec, exec, s[18:19]
	v_add_co_u32_e32 v5, vcc, 32, v5
	v_addc_co_u32_e32 v6, vcc, 0, v6, vcc
	v_cmp_ge_i64_e32 vcc, v[5:6], v[3:4]
	s_or_b64 s[16:17], vcc, s[16:17]
	s_andn2_b64 exec, exec, s[16:17]
	s_cbranch_execz .LBB59_5
.LBB59_9:                               ;   Parent Loop BB59_6 Depth=1
                                        ; =>  This Loop Header: Depth=2
                                        ;       Child Loop BB59_12 Depth 3
	v_lshlrev_b64 v[7:8], 3, v[5:6]
	v_mov_b32_e32 v9, s13
	v_add_co_u32_e32 v7, vcc, s12, v7
	v_addc_co_u32_e32 v8, vcc, v9, v8, vcc
	global_load_dwordx2 v[7:8], v[7:8], off
	s_mov_b64 s[18:19], 0
                                        ; implicit-def: $sgpr20_sgpr21
	s_waitcnt vmcnt(0)
	v_subrev_co_u32_e32 v7, vcc, s29, v7
	v_mul_lo_u32 v9, v7, s9
	v_subbrev_co_u32_e32 v8, vcc, 0, v8, vcc
	v_and_b32_e32 v17, 0x7ff, v9
	s_branch .LBB59_12
.LBB59_10:                              ;   in Loop: Header=BB59_12 Depth=3
	s_or_b64 exec, exec, s[24:25]
	s_andn2_b64 s[20:21], s[20:21], exec
	s_and_b64 s[24:25], s[26:27], exec
	s_or_b64 s[20:21], s[20:21], s[24:25]
.LBB59_11:                              ;   in Loop: Header=BB59_12 Depth=3
	s_or_b64 exec, exec, s[22:23]
	s_xor_b64 s[22:23], s[20:21], -1
	s_and_b64 s[22:23], exec, s[22:23]
	s_or_b64 s[18:19], s[22:23], s[18:19]
	s_andn2_b64 exec, exec, s[18:19]
	s_cbranch_execz .LBB59_8
.LBB59_12:                              ;   Parent Loop BB59_6 Depth=1
                                        ;     Parent Loop BB59_9 Depth=2
                                        ; =>    This Inner Loop Header: Depth=3
	v_lshl_add_u32 v18, v17, 3, 0
	ds_read_b64 v[9:10], v18
	s_andn2_b64 s[20:21], s[20:21], exec
	s_waitcnt lgkmcnt(0)
	v_cmp_ne_u64_e32 vcc, v[9:10], v[7:8]
	s_and_saveexec_b64 s[22:23], vcc
	s_cbranch_execz .LBB59_11
; %bb.13:                               ;   in Loop: Header=BB59_12 Depth=3
	v_cmp_ne_u64_e32 vcc, s[36:37], v[9:10]
	s_and_saveexec_b64 s[24:25], vcc
	s_xor_b64 s[24:25], exec, s[24:25]
; %bb.14:                               ;   in Loop: Header=BB59_12 Depth=3
	v_add_u32_e32 v9, 1, v17
	v_and_b32_e32 v17, 0x7ff, v9
                                        ; implicit-def: $vgpr18
; %bb.15:                               ;   in Loop: Header=BB59_12 Depth=3
	s_or_saveexec_b64 s[24:25], s[24:25]
	s_mov_b64 s[26:27], -1
	s_xor_b64 exec, exec, s[24:25]
	s_cbranch_execz .LBB59_10
; %bb.16:                               ;   in Loop: Header=BB59_12 Depth=3
	v_mov_b32_e32 v9, s36
	v_mov_b32_e32 v10, s37
	ds_cmpst_rtn_b64 v[9:10], v18, v[9:10], v[7:8]
	s_waitcnt lgkmcnt(0)
	v_cmp_ne_u64_e32 vcc, s[36:37], v[9:10]
	s_orn2_b64 s[26:27], vcc, exec
	s_branch .LBB59_10
.LBB59_17:
	s_or_b64 exec, exec, s[2:3]
.LBB59_18:
	s_bfe_u32 s0, s28, 0x10008
	s_cmp_eq_u32 s0, 0
	s_cbranch_scc1 .LBB59_31
; %bb.19:
	s_waitcnt lgkmcnt(0)
	s_lshl_b64 s[0:1], s[38:39], 3
	s_add_u32 s0, s14, s0
	s_addc_u32 s1, s15, s1
	s_load_dwordx4 s[4:7], s[0:1], 0x0
	v_subrev_co_u32_e32 v1, vcc, s47, v0
	v_subb_co_u32_e64 v2, s[0:1], 0, 0, vcc
	s_waitcnt lgkmcnt(0)
	s_sub_u32 s0, s6, s47
	v_mov_b32_e32 v3, s5
	v_add_co_u32_e32 v1, vcc, s4, v1
	s_subb_u32 s1, s7, 0
	v_addc_co_u32_e32 v2, vcc, v3, v2, vcc
	v_cmp_gt_i64_e32 vcc, s[0:1], v[1:2]
	s_and_saveexec_b64 s[2:3], vcc
	s_cbranch_execz .LBB59_30
; %bb.20:
	s_mov_b32 s16, s47
	s_mov_b64 s[4:5], 0
	v_mov_b32_e32 v7, s49
	s_movk_i32 s17, 0x89
	s_branch .LBB59_22
.LBB59_21:                              ;   in Loop: Header=BB59_22 Depth=1
	s_or_b64 exec, exec, s[6:7]
	v_add_co_u32_e32 v1, vcc, 0x400, v1
	v_addc_co_u32_e32 v2, vcc, 0, v2, vcc
	v_cmp_le_i64_e32 vcc, s[0:1], v[1:2]
	s_or_b64 s[4:5], vcc, s[4:5]
	s_andn2_b64 exec, exec, s[4:5]
	s_cbranch_execz .LBB59_30
.LBB59_22:                              ; =>This Loop Header: Depth=1
                                        ;     Child Loop BB59_25 Depth 2
	v_lshlrev_b64 v[3:4], 3, v[1:2]
	s_mov_b64 s[6:7], 0
	v_add_co_u32_e32 v3, vcc, s48, v3
	v_addc_co_u32_e32 v4, vcc, v7, v4, vcc
	global_load_dwordx2 v[3:4], v[3:4], off
                                        ; implicit-def: $sgpr8_sgpr9
	s_waitcnt vmcnt(0)
	v_subrev_co_u32_e32 v3, vcc, s16, v3
	v_mul_lo_u32 v5, v3, s17
	v_subbrev_co_u32_e32 v4, vcc, 0, v4, vcc
	v_and_b32_e32 v8, 0x7ff, v5
	s_branch .LBB59_25
.LBB59_23:                              ;   in Loop: Header=BB59_25 Depth=2
	s_or_b64 exec, exec, s[12:13]
	s_andn2_b64 s[8:9], s[8:9], exec
	s_and_b64 s[12:13], s[14:15], exec
	s_or_b64 s[8:9], s[8:9], s[12:13]
.LBB59_24:                              ;   in Loop: Header=BB59_25 Depth=2
	s_or_b64 exec, exec, s[10:11]
	s_xor_b64 s[10:11], s[8:9], -1
	s_and_b64 s[10:11], exec, s[10:11]
	s_or_b64 s[6:7], s[10:11], s[6:7]
	s_andn2_b64 exec, exec, s[6:7]
	s_cbranch_execz .LBB59_21
.LBB59_25:                              ;   Parent Loop BB59_22 Depth=1
                                        ; =>  This Inner Loop Header: Depth=2
	v_lshl_add_u32 v9, v8, 3, 0
	ds_read_b64 v[5:6], v9
	s_andn2_b64 s[8:9], s[8:9], exec
	s_waitcnt lgkmcnt(0)
	v_cmp_ne_u64_e32 vcc, v[5:6], v[3:4]
	s_and_saveexec_b64 s[10:11], vcc
	s_cbranch_execz .LBB59_24
; %bb.26:                               ;   in Loop: Header=BB59_25 Depth=2
	v_cmp_ne_u64_e32 vcc, s[36:37], v[5:6]
	s_and_saveexec_b64 s[12:13], vcc
	s_xor_b64 s[12:13], exec, s[12:13]
; %bb.27:                               ;   in Loop: Header=BB59_25 Depth=2
	v_add_u32_e32 v5, 1, v8
	v_and_b32_e32 v8, 0x7ff, v5
                                        ; implicit-def: $vgpr9
; %bb.28:                               ;   in Loop: Header=BB59_25 Depth=2
	s_or_saveexec_b64 s[12:13], s[12:13]
	s_mov_b64 s[14:15], -1
	s_xor_b64 exec, exec, s[12:13]
	s_cbranch_execz .LBB59_23
; %bb.29:                               ;   in Loop: Header=BB59_25 Depth=2
	v_mov_b32_e32 v5, s36
	v_mov_b32_e32 v6, s37
	ds_cmpst_rtn_b64 v[5:6], v9, v[5:6], v[3:4]
	s_waitcnt lgkmcnt(0)
	v_cmp_ne_u64_e32 vcc, s[36:37], v[5:6]
	s_orn2_b64 s[14:15], vcc, exec
	s_branch .LBB59_23
.LBB59_30:
	s_or_b64 exec, exec, s[2:3]
.LBB59_31:
	v_mbcnt_lo_u32_b32 v1, -1, 0
	v_mbcnt_hi_u32_b32 v1, -1, v1
	v_sub_u32_e32 v1, 63, v1
	v_lshrrev_b64 v[3:4], v1, -1
	v_lshrrev_b32_e32 v1, 3, v0
	v_and_b32_e32 v1, 0x78, v1
	s_movk_i32 s0, 0x3ff
	s_movk_i32 s4, 0x7f
	;; [unrolled: 1-line block ×15, first 2 shown]
	v_mov_b32_e32 v5, 0
	v_mov_b32_e32 v2, 0
	v_add_u32_e32 v13, 0, v1
	v_cmp_eq_u32_e64 s[0:1], s0, v0
	v_cmp_lt_u32_e64 s[2:3], 63, v0
	v_cmp_lt_u32_e64 s[4:5], s4, v0
	;; [unrolled: 1-line block ×15, first 2 shown]
	v_mov_b32_e32 v6, 0
	s_mov_b64 s[40:41], 0
	s_waitcnt lgkmcnt(0)
	s_barrier
	s_branch .LBB59_33
.LBB59_32:                              ;   in Loop: Header=BB59_33 Depth=1
	s_or_b64 exec, exec, s[42:43]
	s_waitcnt lgkmcnt(0)
	s_barrier
	ds_read_b64 v[7:8], v2 offset:16504
	v_add_u32_e32 v12, 0x2000, v12
	s_waitcnt lgkmcnt(0)
	v_add_co_u32_e32 v5, vcc, v7, v5
	v_addc_co_u32_e32 v6, vcc, v8, v6, vcc
	v_add_co_u32_e32 v11, vcc, 0x400, v11
	s_xor_b64 s[42:43], vcc, -1
	s_and_b64 s[42:43], exec, s[42:43]
	s_or_b64 s[40:41], s[42:43], s[40:41]
	s_andn2_b64 exec, exec, s[40:41]
	s_cbranch_execz .LBB59_67
.LBB59_33:                              ; =>This Inner Loop Header: Depth=1
	ds_read_b64 v[7:8], v12
	s_waitcnt lgkmcnt(0)
	s_barrier
	v_cmp_gt_i64_e32 vcc, s[36:37], v[7:8]
	v_and_b32_e32 v10, vcc_lo, v3
	s_bcnt1_i32_b64 s33, vcc
	v_and_b32_e32 v9, vcc_hi, v4
	v_bcnt_u32_b32 v10, v10, 0
	v_mov_b32_e32 v1, s33
	v_bcnt_u32_b32 v9, v9, v10
	ds_write_b64 v13, v[1:2] offset:16384
	s_waitcnt lgkmcnt(0)
	s_barrier
	s_and_saveexec_b64 s[42:43], s[2:3]
	s_cbranch_execnz .LBB59_50
; %bb.34:                               ;   in Loop: Header=BB59_33 Depth=1
	s_or_b64 exec, exec, s[42:43]
	s_and_saveexec_b64 s[42:43], s[4:5]
	s_cbranch_execnz .LBB59_51
.LBB59_35:                              ;   in Loop: Header=BB59_33 Depth=1
	s_or_b64 exec, exec, s[42:43]
	s_and_saveexec_b64 s[42:43], s[6:7]
	s_cbranch_execnz .LBB59_52
.LBB59_36:                              ;   in Loop: Header=BB59_33 Depth=1
	s_or_b64 exec, exec, s[42:43]
	s_and_saveexec_b64 s[42:43], s[8:9]
	s_cbranch_execnz .LBB59_53
.LBB59_37:                              ;   in Loop: Header=BB59_33 Depth=1
	s_or_b64 exec, exec, s[42:43]
	s_and_saveexec_b64 s[42:43], s[10:11]
	s_cbranch_execnz .LBB59_54
.LBB59_38:                              ;   in Loop: Header=BB59_33 Depth=1
	s_or_b64 exec, exec, s[42:43]
	s_and_saveexec_b64 s[42:43], s[12:13]
	s_cbranch_execnz .LBB59_55
.LBB59_39:                              ;   in Loop: Header=BB59_33 Depth=1
	s_or_b64 exec, exec, s[42:43]
	s_and_saveexec_b64 s[42:43], s[14:15]
	s_cbranch_execnz .LBB59_56
.LBB59_40:                              ;   in Loop: Header=BB59_33 Depth=1
	s_or_b64 exec, exec, s[42:43]
	s_and_saveexec_b64 s[42:43], s[16:17]
	s_cbranch_execnz .LBB59_57
.LBB59_41:                              ;   in Loop: Header=BB59_33 Depth=1
	s_or_b64 exec, exec, s[42:43]
	s_and_saveexec_b64 s[42:43], s[18:19]
	s_cbranch_execnz .LBB59_58
.LBB59_42:                              ;   in Loop: Header=BB59_33 Depth=1
	s_or_b64 exec, exec, s[42:43]
	s_and_saveexec_b64 s[42:43], s[20:21]
	s_cbranch_execnz .LBB59_59
.LBB59_43:                              ;   in Loop: Header=BB59_33 Depth=1
	s_or_b64 exec, exec, s[42:43]
	s_and_saveexec_b64 s[42:43], s[22:23]
	s_cbranch_execnz .LBB59_60
.LBB59_44:                              ;   in Loop: Header=BB59_33 Depth=1
	s_or_b64 exec, exec, s[42:43]
	s_and_saveexec_b64 s[42:43], s[24:25]
	s_cbranch_execnz .LBB59_61
.LBB59_45:                              ;   in Loop: Header=BB59_33 Depth=1
	s_or_b64 exec, exec, s[42:43]
	s_and_saveexec_b64 s[42:43], s[26:27]
	s_cbranch_execnz .LBB59_62
.LBB59_46:                              ;   in Loop: Header=BB59_33 Depth=1
	s_or_b64 exec, exec, s[42:43]
	s_and_saveexec_b64 s[42:43], s[28:29]
	s_cbranch_execnz .LBB59_63
.LBB59_47:                              ;   in Loop: Header=BB59_33 Depth=1
	s_or_b64 exec, exec, s[42:43]
	s_and_saveexec_b64 s[42:43], s[30:31]
	s_cbranch_execnz .LBB59_64
.LBB59_48:                              ;   in Loop: Header=BB59_33 Depth=1
	s_or_b64 exec, exec, s[42:43]
	v_ashrrev_i32_e32 v10, 31, v9
	s_and_saveexec_b64 s[42:43], vcc
	s_cbranch_execnz .LBB59_65
.LBB59_49:                              ;   in Loop: Header=BB59_33 Depth=1
	s_or_b64 exec, exec, s[42:43]
	s_and_saveexec_b64 s[42:43], s[0:1]
	s_cbranch_execz .LBB59_32
	s_branch .LBB59_66
.LBB59_50:                              ;   in Loop: Header=BB59_33 Depth=1
	ds_read_b32 v1, v2 offset:16384
	s_waitcnt lgkmcnt(0)
	v_add_u32_e32 v9, v1, v9
	s_or_b64 exec, exec, s[42:43]
	s_and_saveexec_b64 s[42:43], s[4:5]
	s_cbranch_execz .LBB59_35
.LBB59_51:                              ;   in Loop: Header=BB59_33 Depth=1
	ds_read_b32 v1, v2 offset:16392
	s_waitcnt lgkmcnt(0)
	v_add_u32_e32 v9, v9, v1
	s_or_b64 exec, exec, s[42:43]
	s_and_saveexec_b64 s[42:43], s[6:7]
	s_cbranch_execz .LBB59_36
.LBB59_52:                              ;   in Loop: Header=BB59_33 Depth=1
	ds_read_b32 v1, v2 offset:16400
	s_waitcnt lgkmcnt(0)
	v_add_u32_e32 v9, v9, v1
	s_or_b64 exec, exec, s[42:43]
	s_and_saveexec_b64 s[42:43], s[8:9]
	s_cbranch_execz .LBB59_37
.LBB59_53:                              ;   in Loop: Header=BB59_33 Depth=1
	ds_read_b32 v1, v2 offset:16408
	s_waitcnt lgkmcnt(0)
	v_add_u32_e32 v9, v9, v1
	s_or_b64 exec, exec, s[42:43]
	s_and_saveexec_b64 s[42:43], s[10:11]
	s_cbranch_execz .LBB59_38
.LBB59_54:                              ;   in Loop: Header=BB59_33 Depth=1
	ds_read_b32 v1, v2 offset:16416
	s_waitcnt lgkmcnt(0)
	v_add_u32_e32 v9, v9, v1
	s_or_b64 exec, exec, s[42:43]
	s_and_saveexec_b64 s[42:43], s[12:13]
	s_cbranch_execz .LBB59_39
.LBB59_55:                              ;   in Loop: Header=BB59_33 Depth=1
	ds_read_b32 v1, v2 offset:16424
	s_waitcnt lgkmcnt(0)
	v_add_u32_e32 v9, v9, v1
	s_or_b64 exec, exec, s[42:43]
	s_and_saveexec_b64 s[42:43], s[14:15]
	s_cbranch_execz .LBB59_40
.LBB59_56:                              ;   in Loop: Header=BB59_33 Depth=1
	ds_read_b32 v1, v2 offset:16432
	s_waitcnt lgkmcnt(0)
	v_add_u32_e32 v9, v9, v1
	s_or_b64 exec, exec, s[42:43]
	s_and_saveexec_b64 s[42:43], s[16:17]
	s_cbranch_execz .LBB59_41
.LBB59_57:                              ;   in Loop: Header=BB59_33 Depth=1
	ds_read_b32 v1, v2 offset:16440
	s_waitcnt lgkmcnt(0)
	v_add_u32_e32 v9, v9, v1
	s_or_b64 exec, exec, s[42:43]
	s_and_saveexec_b64 s[42:43], s[18:19]
	s_cbranch_execz .LBB59_42
.LBB59_58:                              ;   in Loop: Header=BB59_33 Depth=1
	ds_read_b32 v1, v2 offset:16448
	s_waitcnt lgkmcnt(0)
	v_add_u32_e32 v9, v9, v1
	s_or_b64 exec, exec, s[42:43]
	s_and_saveexec_b64 s[42:43], s[20:21]
	s_cbranch_execz .LBB59_43
.LBB59_59:                              ;   in Loop: Header=BB59_33 Depth=1
	ds_read_b32 v1, v2 offset:16456
	s_waitcnt lgkmcnt(0)
	v_add_u32_e32 v9, v9, v1
	s_or_b64 exec, exec, s[42:43]
	s_and_saveexec_b64 s[42:43], s[22:23]
	s_cbranch_execz .LBB59_44
.LBB59_60:                              ;   in Loop: Header=BB59_33 Depth=1
	ds_read_b32 v1, v2 offset:16464
	s_waitcnt lgkmcnt(0)
	v_add_u32_e32 v9, v9, v1
	s_or_b64 exec, exec, s[42:43]
	s_and_saveexec_b64 s[42:43], s[24:25]
	s_cbranch_execz .LBB59_45
.LBB59_61:                              ;   in Loop: Header=BB59_33 Depth=1
	ds_read_b32 v1, v2 offset:16472
	s_waitcnt lgkmcnt(0)
	v_add_u32_e32 v9, v9, v1
	s_or_b64 exec, exec, s[42:43]
	s_and_saveexec_b64 s[42:43], s[26:27]
	s_cbranch_execz .LBB59_46
.LBB59_62:                              ;   in Loop: Header=BB59_33 Depth=1
	ds_read_b32 v1, v2 offset:16480
	s_waitcnt lgkmcnt(0)
	v_add_u32_e32 v9, v9, v1
	s_or_b64 exec, exec, s[42:43]
	s_and_saveexec_b64 s[42:43], s[28:29]
	s_cbranch_execz .LBB59_47
.LBB59_63:                              ;   in Loop: Header=BB59_33 Depth=1
	ds_read_b32 v1, v2 offset:16488
	s_waitcnt lgkmcnt(0)
	v_add_u32_e32 v9, v9, v1
	s_or_b64 exec, exec, s[42:43]
	s_and_saveexec_b64 s[42:43], s[30:31]
	s_cbranch_execz .LBB59_48
.LBB59_64:                              ;   in Loop: Header=BB59_33 Depth=1
	ds_read_b32 v1, v2 offset:16496
	s_waitcnt lgkmcnt(0)
	v_add_u32_e32 v9, v9, v1
	s_or_b64 exec, exec, s[42:43]
	v_ashrrev_i32_e32 v10, 31, v9
	s_and_saveexec_b64 s[42:43], vcc
	s_cbranch_execz .LBB59_49
.LBB59_65:                              ;   in Loop: Header=BB59_33 Depth=1
	v_lshlrev_b32_e32 v1, 3, v5
	v_add_u32_e32 v1, 0, v1
	v_lshlrev_b32_e32 v14, 3, v9
	v_add3_u32 v1, v1, v14, -8
	ds_write_b64 v1, v[7:8]
	s_or_b64 exec, exec, s[42:43]
	s_and_saveexec_b64 s[42:43], s[0:1]
	s_cbranch_execz .LBB59_32
.LBB59_66:                              ;   in Loop: Header=BB59_33 Depth=1
	ds_write_b64 v2, v[9:10] offset:16504
	s_branch .LBB59_32
.LBB59_67:
	s_or_b64 exec, exec, s[40:41]
	s_lshl_b64 s[0:1], s[38:39], 3
	s_add_u32 s4, s50, s0
	s_addc_u32 s5, s51, s1
	s_load_dwordx4 s[0:3], s[4:5], 0x0
	v_mov_b32_e32 v1, 0
	s_waitcnt lgkmcnt(0)
	s_sub_u32 s4, s2, s0
	s_subb_u32 s5, s3, s1
	v_cmp_gt_i64_e32 vcc, s[4:5], v[0:1]
	s_and_saveexec_b64 s[6:7], vcc
	s_cbranch_execz .LBB59_77
; %bb.68:
	s_sub_u32 s8, s0, s46
	s_subb_u32 s9, s1, 0
	s_and_b32 s6, s4, 7
	s_sub_u32 s0, s0, s2
	s_subb_u32 s1, s1, s3
	v_cmp_lt_u64_e64 s[0:1], s[0:1], -7
	s_mov_b32 s7, 0
	s_and_b32 s10, s4, -8
	s_cmp_lg_u64 s[6:7], 0
	v_cndmask_b32_e64 v2, 0, 1, s[0:1]
	s_mov_b32 s11, s5
	s_mov_b64 s[12:13], 0
	s_cselect_b64 s[14:15], -1, 0
	v_cmp_ne_u32_e64 s[0:1], 1, v2
	s_branch .LBB59_70
.LBB59_69:                              ;   in Loop: Header=BB59_70 Depth=1
	s_waitcnt lgkmcnt(0)
	v_add_co_u32_e32 v2, vcc, s46, v2
	v_addc_co_u32_e32 v3, vcc, 0, v3, vcc
	v_add_co_u32_e32 v0, vcc, 0x400, v0
	v_lshlrev_b64 v[4:5], 3, v[4:5]
	v_addc_co_u32_e32 v1, vcc, 0, v1, vcc
	v_cmp_le_i64_e32 vcc, s[4:5], v[0:1]
	v_mov_b32_e32 v6, s35
	v_add_co_u32_e64 v4, s[2:3], s34, v4
	v_addc_co_u32_e64 v5, s[2:3], v6, v5, s[2:3]
	s_or_b64 s[12:13], vcc, s[12:13]
	global_store_dwordx2 v[4:5], v[2:3], off
	s_andn2_b64 exec, exec, s[12:13]
	s_cbranch_execz .LBB59_77
.LBB59_70:                              ; =>This Loop Header: Depth=1
                                        ;     Child Loop BB59_72 Depth 2
                                        ;     Child Loop BB59_76 Depth 2
	v_lshl_add_u32 v2, v0, 3, 0
	ds_read_b64 v[2:3], v2
	v_mov_b32_e32 v4, s8
	s_and_b64 vcc, exec, s[0:1]
	v_mov_b32_e32 v5, s9
	s_mov_b64 s[2:3], 0
	s_cbranch_vccnz .LBB59_74
; %bb.71:                               ;   in Loop: Header=BB59_70 Depth=1
	v_mov_b32_e32 v4, s8
	s_mov_b64 s[16:17], 0
	s_mov_b32 s18, 0
	v_mov_b32_e32 v5, s9
.LBB59_72:                              ;   Parent Loop BB59_70 Depth=1
                                        ; =>  This Inner Loop Header: Depth=2
	v_mov_b32_e32 v18, s18
	ds_read2_b64 v[6:9], v18 offset1:1
	ds_read2_b64 v[10:13], v18 offset0:2 offset1:3
	ds_read2_b64 v[14:17], v18 offset0:4 offset1:5
	;; [unrolled: 1-line block ×3, first 2 shown]
	s_add_u32 s16, s16, 8
	s_waitcnt lgkmcnt(3)
	v_cmp_gt_i64_e32 vcc, v[2:3], v[8:9]
	v_cmp_gt_i64_e64 s[2:3], v[2:3], v[6:7]
	v_cndmask_b32_e64 v7, 0, 1, vcc
	s_waitcnt lgkmcnt(2)
	v_cmp_gt_i64_e32 vcc, v[2:3], v[10:11]
	v_cndmask_b32_e64 v6, 0, 1, s[2:3]
	v_cndmask_b32_e64 v8, 0, 1, vcc
	v_cmp_gt_i64_e32 vcc, v[2:3], v[12:13]
	s_addc_u32 s17, s17, 0
	v_cndmask_b32_e64 v9, 0, 1, vcc
	s_waitcnt lgkmcnt(1)
	v_cmp_gt_i64_e32 vcc, v[2:3], v[14:15]
	s_add_i32 s18, s18, 64
	v_cndmask_b32_e64 v10, 0, 1, vcc
	v_cmp_gt_i64_e32 vcc, v[2:3], v[16:17]
	s_cmp_eq_u64 s[10:11], s[16:17]
	v_cndmask_b32_e64 v11, 0, 1, vcc
	s_waitcnt lgkmcnt(0)
	v_cmp_gt_i64_e32 vcc, v[2:3], v[18:19]
	v_cndmask_b32_e64 v12, 0, 1, vcc
	v_cmp_gt_i64_e32 vcc, v[2:3], v[20:21]
	v_cndmask_b32_e64 v13, 0, 1, vcc
	v_add_co_u32_e32 v4, vcc, v4, v6
	v_addc_co_u32_e32 v5, vcc, 0, v5, vcc
	v_add_co_u32_e32 v4, vcc, v4, v7
	v_addc_co_u32_e32 v5, vcc, 0, v5, vcc
	;; [unrolled: 2-line block ×8, first 2 shown]
	s_cbranch_scc0 .LBB59_72
; %bb.73:                               ;   in Loop: Header=BB59_70 Depth=1
	s_mov_b64 s[2:3], s[10:11]
.LBB59_74:                              ;   in Loop: Header=BB59_70 Depth=1
	s_andn2_b64 vcc, exec, s[14:15]
	s_cbranch_vccnz .LBB59_69
; %bb.75:                               ;   in Loop: Header=BB59_70 Depth=1
	s_lshl_b32 s2, s2, 3
	s_add_i32 s16, s2, 0
	s_mov_b64 s[2:3], s[6:7]
.LBB59_76:                              ;   Parent Loop BB59_70 Depth=1
                                        ; =>  This Inner Loop Header: Depth=2
	v_mov_b32_e32 v6, s16
	ds_read_b64 v[6:7], v6
	s_add_i32 s16, s16, 8
	s_add_u32 s2, s2, -1
	s_addc_u32 s3, s3, -1
	s_cmp_lg_u64 s[2:3], 0
	s_waitcnt lgkmcnt(0)
	v_cmp_gt_i64_e32 vcc, v[2:3], v[6:7]
	v_cndmask_b32_e64 v6, 0, 1, vcc
	v_add_co_u32_e32 v4, vcc, v4, v6
	v_addc_co_u32_e32 v5, vcc, 0, v5, vcc
	s_cbranch_scc1 .LBB59_76
	s_branch .LBB59_69
.LBB59_77:
	s_endpgm
	.section	.rodata,"a",@progbits
	.p2align	6, 0x0
	.amdhsa_kernel _ZN9rocsparseL35csrgemm_symbolic_fill_block_per_rowILj1024ELj32ELj2048ELj137ELj64EllEEvT5_PKS1_S3_PKT4_S3_S6_S3_S6_S3_S6_PS1_21rocsparse_index_base_S8_S8_S8_bb
		.amdhsa_group_segment_fixed_size 0
		.amdhsa_private_segment_fixed_size 0
		.amdhsa_kernarg_size 108
		.amdhsa_user_sgpr_count 6
		.amdhsa_user_sgpr_private_segment_buffer 1
		.amdhsa_user_sgpr_dispatch_ptr 0
		.amdhsa_user_sgpr_queue_ptr 0
		.amdhsa_user_sgpr_kernarg_segment_ptr 1
		.amdhsa_user_sgpr_dispatch_id 0
		.amdhsa_user_sgpr_flat_scratch_init 0
		.amdhsa_user_sgpr_private_segment_size 0
		.amdhsa_uses_dynamic_stack 0
		.amdhsa_system_sgpr_private_segment_wavefront_offset 0
		.amdhsa_system_sgpr_workgroup_id_x 1
		.amdhsa_system_sgpr_workgroup_id_y 0
		.amdhsa_system_sgpr_workgroup_id_z 0
		.amdhsa_system_sgpr_workgroup_info 0
		.amdhsa_system_vgpr_workitem_id 0
		.amdhsa_next_free_vgpr 22
		.amdhsa_next_free_sgpr 52
		.amdhsa_reserve_vcc 1
		.amdhsa_reserve_flat_scratch 0
		.amdhsa_float_round_mode_32 0
		.amdhsa_float_round_mode_16_64 0
		.amdhsa_float_denorm_mode_32 3
		.amdhsa_float_denorm_mode_16_64 3
		.amdhsa_dx10_clamp 1
		.amdhsa_ieee_mode 1
		.amdhsa_fp16_overflow 0
		.amdhsa_exception_fp_ieee_invalid_op 0
		.amdhsa_exception_fp_denorm_src 0
		.amdhsa_exception_fp_ieee_div_zero 0
		.amdhsa_exception_fp_ieee_overflow 0
		.amdhsa_exception_fp_ieee_underflow 0
		.amdhsa_exception_fp_ieee_inexact 0
		.amdhsa_exception_int_div_zero 0
	.end_amdhsa_kernel
	.section	.text._ZN9rocsparseL35csrgemm_symbolic_fill_block_per_rowILj1024ELj32ELj2048ELj137ELj64EllEEvT5_PKS1_S3_PKT4_S3_S6_S3_S6_S3_S6_PS1_21rocsparse_index_base_S8_S8_S8_bb,"axG",@progbits,_ZN9rocsparseL35csrgemm_symbolic_fill_block_per_rowILj1024ELj32ELj2048ELj137ELj64EllEEvT5_PKS1_S3_PKT4_S3_S6_S3_S6_S3_S6_PS1_21rocsparse_index_base_S8_S8_S8_bb,comdat
.Lfunc_end59:
	.size	_ZN9rocsparseL35csrgemm_symbolic_fill_block_per_rowILj1024ELj32ELj2048ELj137ELj64EllEEvT5_PKS1_S3_PKT4_S3_S6_S3_S6_S3_S6_PS1_21rocsparse_index_base_S8_S8_S8_bb, .Lfunc_end59-_ZN9rocsparseL35csrgemm_symbolic_fill_block_per_rowILj1024ELj32ELj2048ELj137ELj64EllEEvT5_PKS1_S3_PKT4_S3_S6_S3_S6_S3_S6_PS1_21rocsparse_index_base_S8_S8_S8_bb
                                        ; -- End function
	.set _ZN9rocsparseL35csrgemm_symbolic_fill_block_per_rowILj1024ELj32ELj2048ELj137ELj64EllEEvT5_PKS1_S3_PKT4_S3_S6_S3_S6_S3_S6_PS1_21rocsparse_index_base_S8_S8_S8_bb.num_vgpr, 22
	.set _ZN9rocsparseL35csrgemm_symbolic_fill_block_per_rowILj1024ELj32ELj2048ELj137ELj64EllEEvT5_PKS1_S3_PKT4_S3_S6_S3_S6_S3_S6_PS1_21rocsparse_index_base_S8_S8_S8_bb.num_agpr, 0
	.set _ZN9rocsparseL35csrgemm_symbolic_fill_block_per_rowILj1024ELj32ELj2048ELj137ELj64EllEEvT5_PKS1_S3_PKT4_S3_S6_S3_S6_S3_S6_PS1_21rocsparse_index_base_S8_S8_S8_bb.numbered_sgpr, 52
	.set _ZN9rocsparseL35csrgemm_symbolic_fill_block_per_rowILj1024ELj32ELj2048ELj137ELj64EllEEvT5_PKS1_S3_PKT4_S3_S6_S3_S6_S3_S6_PS1_21rocsparse_index_base_S8_S8_S8_bb.num_named_barrier, 0
	.set _ZN9rocsparseL35csrgemm_symbolic_fill_block_per_rowILj1024ELj32ELj2048ELj137ELj64EllEEvT5_PKS1_S3_PKT4_S3_S6_S3_S6_S3_S6_PS1_21rocsparse_index_base_S8_S8_S8_bb.private_seg_size, 0
	.set _ZN9rocsparseL35csrgemm_symbolic_fill_block_per_rowILj1024ELj32ELj2048ELj137ELj64EllEEvT5_PKS1_S3_PKT4_S3_S6_S3_S6_S3_S6_PS1_21rocsparse_index_base_S8_S8_S8_bb.uses_vcc, 1
	.set _ZN9rocsparseL35csrgemm_symbolic_fill_block_per_rowILj1024ELj32ELj2048ELj137ELj64EllEEvT5_PKS1_S3_PKT4_S3_S6_S3_S6_S3_S6_PS1_21rocsparse_index_base_S8_S8_S8_bb.uses_flat_scratch, 0
	.set _ZN9rocsparseL35csrgemm_symbolic_fill_block_per_rowILj1024ELj32ELj2048ELj137ELj64EllEEvT5_PKS1_S3_PKT4_S3_S6_S3_S6_S3_S6_PS1_21rocsparse_index_base_S8_S8_S8_bb.has_dyn_sized_stack, 0
	.set _ZN9rocsparseL35csrgemm_symbolic_fill_block_per_rowILj1024ELj32ELj2048ELj137ELj64EllEEvT5_PKS1_S3_PKT4_S3_S6_S3_S6_S3_S6_PS1_21rocsparse_index_base_S8_S8_S8_bb.has_recursion, 0
	.set _ZN9rocsparseL35csrgemm_symbolic_fill_block_per_rowILj1024ELj32ELj2048ELj137ELj64EllEEvT5_PKS1_S3_PKT4_S3_S6_S3_S6_S3_S6_PS1_21rocsparse_index_base_S8_S8_S8_bb.has_indirect_call, 0
	.section	.AMDGPU.csdata,"",@progbits
; Kernel info:
; codeLenInByte = 2704
; TotalNumSgprs: 56
; NumVgprs: 22
; ScratchSize: 0
; MemoryBound: 0
; FloatMode: 240
; IeeeMode: 1
; LDSByteSize: 0 bytes/workgroup (compile time only)
; SGPRBlocks: 6
; VGPRBlocks: 5
; NumSGPRsForWavesPerEU: 56
; NumVGPRsForWavesPerEU: 22
; Occupancy: 10
; WaveLimiterHint : 1
; COMPUTE_PGM_RSRC2:SCRATCH_EN: 0
; COMPUTE_PGM_RSRC2:USER_SGPR: 6
; COMPUTE_PGM_RSRC2:TRAP_HANDLER: 0
; COMPUTE_PGM_RSRC2:TGID_X_EN: 1
; COMPUTE_PGM_RSRC2:TGID_Y_EN: 0
; COMPUTE_PGM_RSRC2:TGID_Z_EN: 0
; COMPUTE_PGM_RSRC2:TIDIG_COMP_CNT: 0
	.section	.text._ZN9rocsparseL35csrgemm_symbolic_fill_block_per_rowILj1024ELj64ELj4096ELj137ELj32EllEEvT5_PKS1_S3_PKT4_S3_S6_S3_S6_S3_S6_PS1_21rocsparse_index_base_S8_S8_S8_bb,"axG",@progbits,_ZN9rocsparseL35csrgemm_symbolic_fill_block_per_rowILj1024ELj64ELj4096ELj137ELj32EllEEvT5_PKS1_S3_PKT4_S3_S6_S3_S6_S3_S6_PS1_21rocsparse_index_base_S8_S8_S8_bb,comdat
	.globl	_ZN9rocsparseL35csrgemm_symbolic_fill_block_per_rowILj1024ELj64ELj4096ELj137ELj32EllEEvT5_PKS1_S3_PKT4_S3_S6_S3_S6_S3_S6_PS1_21rocsparse_index_base_S8_S8_S8_bb ; -- Begin function _ZN9rocsparseL35csrgemm_symbolic_fill_block_per_rowILj1024ELj64ELj4096ELj137ELj32EllEEvT5_PKS1_S3_PKT4_S3_S6_S3_S6_S3_S6_PS1_21rocsparse_index_base_S8_S8_S8_bb
	.p2align	8
	.type	_ZN9rocsparseL35csrgemm_symbolic_fill_block_per_rowILj1024ELj64ELj4096ELj137ELj32EllEEvT5_PKS1_S3_PKT4_S3_S6_S3_S6_S3_S6_PS1_21rocsparse_index_base_S8_S8_S8_bb,@function
_ZN9rocsparseL35csrgemm_symbolic_fill_block_per_rowILj1024ELj64ELj4096ELj137ELj32EllEEvT5_PKS1_S3_PKT4_S3_S6_S3_S6_S3_S6_PS1_21rocsparse_index_base_S8_S8_S8_bb: ; @_ZN9rocsparseL35csrgemm_symbolic_fill_block_per_rowILj1024ELj64ELj4096ELj137ELj32EllEEvT5_PKS1_S3_PKT4_S3_S6_S3_S6_S3_S6_PS1_21rocsparse_index_base_S8_S8_S8_bb
; %bb.0:
	s_load_dwordx2 s[80:81], s[4:5], 0x50
	s_load_dwordx4 s[76:79], s[4:5], 0x40
	s_load_dwordx8 s[68:75], s[4:5], 0x0
	s_load_dwordx8 s[8:15], s[4:5], 0x20
	v_or_b32_e32 v11, 0xfffffc00, v0
	v_lshl_add_u32 v12, v0, 3, 0
	s_mov_b64 s[0:1], 0
	s_waitcnt lgkmcnt(0)
	v_mov_b32_e32 v1, s68
	v_mov_b32_e32 v2, s69
	s_movk_i32 s2, 0xbff
	v_mov_b32_e32 v3, v12
	v_mov_b32_e32 v4, v11
.LBB60_1:                               ; =>This Inner Loop Header: Depth=1
	v_add_u32_e32 v4, 0x400, v4
	v_cmp_lt_u32_e32 vcc, s2, v4
	ds_write_b64 v3, v[1:2]
	s_or_b64 s[0:1], vcc, s[0:1]
	v_add_u32_e32 v3, 0x2000, v3
	s_andn2_b64 exec, exec, s[0:1]
	s_cbranch_execnz .LBB60_1
; %bb.2:
	s_or_b64 exec, exec, s[0:1]
	s_load_dword s28, s[4:5], 0x68
	s_waitcnt lgkmcnt(0)
	s_barrier
	s_load_dwordx2 s[0:1], s[70:71], 0x0
	s_load_dwordx4 s[64:67], s[4:5], 0x58
	s_bitcmp1_b32 s28, 0
	s_cselect_b64 s[2:3], -1, 0
	s_mov_b32 s7, 0
	s_waitcnt lgkmcnt(0)
	s_lshl_b64 s[0:1], s[0:1], 3
	s_add_u32 s4, s72, s0
	s_addc_u32 s5, s73, s1
	s_lshl_b64 s[0:1], s[6:7], 3
	s_add_u32 s0, s4, s0
	s_addc_u32 s1, s5, s1
	s_load_dwordx2 s[70:71], s[0:1], 0x0
	s_and_b64 vcc, exec, s[2:3]
	s_cbranch_vccz .LBB60_18
; %bb.3:
	s_waitcnt lgkmcnt(0)
	s_lshl_b64 s[0:1], s[70:71], 3
	s_add_u32 s0, s74, s0
	s_addc_u32 s1, s75, s1
	s_load_dwordx4 s[4:7], s[0:1], 0x0
	v_lshrrev_b32_e32 v1, 6, v0
	v_subrev_co_u32_e32 v1, vcc, s64, v1
	v_subb_co_u32_e64 v2, s[2:3], 0, 0, vcc
	s_waitcnt lgkmcnt(0)
	s_sub_u32 s0, s6, s64
	v_mov_b32_e32 v3, s5
	v_add_co_u32_e32 v1, vcc, s4, v1
	s_subb_u32 s1, s7, 0
	v_addc_co_u32_e32 v2, vcc, v3, v2, vcc
	v_cmp_gt_i64_e32 vcc, s[0:1], v[1:2]
	s_and_saveexec_b64 s[2:3], vcc
	s_cbranch_execz .LBB60_17
; %bb.4:
	v_and_b32_e32 v3, 63, v0
	v_subrev_co_u32_e32 v13, vcc, s65, v3
	v_subb_co_u32_e64 v14, s[4:5], 0, 0, vcc
	s_mov_b32 s29, s65
	s_mov_b64 s[4:5], 0
	v_mov_b32_e32 v15, s9
	v_mov_b32_e32 v16, s11
	s_movk_i32 s9, 0x89
	s_branch .LBB60_6
.LBB60_5:                               ;   in Loop: Header=BB60_6 Depth=1
	s_or_b64 exec, exec, s[6:7]
	v_add_co_u32_e32 v1, vcc, 16, v1
	v_addc_co_u32_e32 v2, vcc, 0, v2, vcc
	v_cmp_le_i64_e32 vcc, s[0:1], v[1:2]
	s_or_b64 s[4:5], vcc, s[4:5]
	s_andn2_b64 exec, exec, s[4:5]
	s_cbranch_execz .LBB60_17
.LBB60_6:                               ; =>This Loop Header: Depth=1
                                        ;     Child Loop BB60_9 Depth 2
                                        ;       Child Loop BB60_12 Depth 3
	v_lshlrev_b64 v[3:4], 3, v[1:2]
	v_add_co_u32_e32 v3, vcc, s8, v3
	v_addc_co_u32_e32 v4, vcc, v15, v4, vcc
	global_load_dwordx2 v[3:4], v[3:4], off
	s_waitcnt vmcnt(0)
	v_subrev_co_u32_e32 v3, vcc, s64, v3
	v_subbrev_co_u32_e32 v4, vcc, 0, v4, vcc
	v_lshlrev_b64 v[3:4], 3, v[3:4]
	v_add_co_u32_e32 v3, vcc, s10, v3
	v_addc_co_u32_e32 v4, vcc, v16, v4, vcc
	global_load_dwordx4 v[5:8], v[3:4], off
	s_waitcnt vmcnt(0)
	v_subrev_co_u32_e32 v3, vcc, s29, v7
	v_subbrev_co_u32_e32 v4, vcc, 0, v8, vcc
	v_add_co_u32_e32 v5, vcc, v5, v13
	v_addc_co_u32_e32 v6, vcc, v6, v14, vcc
	v_cmp_lt_i64_e32 vcc, v[5:6], v[3:4]
	s_and_saveexec_b64 s[6:7], vcc
	s_cbranch_execz .LBB60_5
; %bb.7:                                ;   in Loop: Header=BB60_6 Depth=1
	s_mov_b64 s[16:17], 0
	s_branch .LBB60_9
.LBB60_8:                               ;   in Loop: Header=BB60_9 Depth=2
	s_or_b64 exec, exec, s[18:19]
	v_add_co_u32_e32 v5, vcc, 64, v5
	v_addc_co_u32_e32 v6, vcc, 0, v6, vcc
	v_cmp_ge_i64_e32 vcc, v[5:6], v[3:4]
	s_or_b64 s[16:17], vcc, s[16:17]
	s_andn2_b64 exec, exec, s[16:17]
	s_cbranch_execz .LBB60_5
.LBB60_9:                               ;   Parent Loop BB60_6 Depth=1
                                        ; =>  This Loop Header: Depth=2
                                        ;       Child Loop BB60_12 Depth 3
	v_lshlrev_b64 v[7:8], 3, v[5:6]
	v_mov_b32_e32 v9, s13
	v_add_co_u32_e32 v7, vcc, s12, v7
	v_addc_co_u32_e32 v8, vcc, v9, v8, vcc
	global_load_dwordx2 v[7:8], v[7:8], off
	s_mov_b64 s[18:19], 0
                                        ; implicit-def: $sgpr20_sgpr21
	s_waitcnt vmcnt(0)
	v_subrev_co_u32_e32 v7, vcc, s29, v7
	v_mul_lo_u32 v9, v7, s9
	v_subbrev_co_u32_e32 v8, vcc, 0, v8, vcc
	v_and_b32_e32 v17, 0xfff, v9
	s_branch .LBB60_12
.LBB60_10:                              ;   in Loop: Header=BB60_12 Depth=3
	s_or_b64 exec, exec, s[24:25]
	s_andn2_b64 s[20:21], s[20:21], exec
	s_and_b64 s[24:25], s[26:27], exec
	s_or_b64 s[20:21], s[20:21], s[24:25]
.LBB60_11:                              ;   in Loop: Header=BB60_12 Depth=3
	s_or_b64 exec, exec, s[22:23]
	s_xor_b64 s[22:23], s[20:21], -1
	s_and_b64 s[22:23], exec, s[22:23]
	s_or_b64 s[18:19], s[22:23], s[18:19]
	s_andn2_b64 exec, exec, s[18:19]
	s_cbranch_execz .LBB60_8
.LBB60_12:                              ;   Parent Loop BB60_6 Depth=1
                                        ;     Parent Loop BB60_9 Depth=2
                                        ; =>    This Inner Loop Header: Depth=3
	v_lshl_add_u32 v18, v17, 3, 0
	ds_read_b64 v[9:10], v18
	s_andn2_b64 s[20:21], s[20:21], exec
	s_waitcnt lgkmcnt(0)
	v_cmp_ne_u64_e32 vcc, v[9:10], v[7:8]
	s_and_saveexec_b64 s[22:23], vcc
	s_cbranch_execz .LBB60_11
; %bb.13:                               ;   in Loop: Header=BB60_12 Depth=3
	v_cmp_ne_u64_e32 vcc, s[68:69], v[9:10]
	s_and_saveexec_b64 s[24:25], vcc
	s_xor_b64 s[24:25], exec, s[24:25]
; %bb.14:                               ;   in Loop: Header=BB60_12 Depth=3
	v_add_u32_e32 v9, 1, v17
	v_and_b32_e32 v17, 0xfff, v9
                                        ; implicit-def: $vgpr18
; %bb.15:                               ;   in Loop: Header=BB60_12 Depth=3
	s_or_saveexec_b64 s[24:25], s[24:25]
	s_mov_b64 s[26:27], -1
	s_xor_b64 exec, exec, s[24:25]
	s_cbranch_execz .LBB60_10
; %bb.16:                               ;   in Loop: Header=BB60_12 Depth=3
	v_mov_b32_e32 v9, s68
	v_mov_b32_e32 v10, s69
	ds_cmpst_rtn_b64 v[9:10], v18, v[9:10], v[7:8]
	s_waitcnt lgkmcnt(0)
	v_cmp_ne_u64_e32 vcc, s[68:69], v[9:10]
	s_orn2_b64 s[26:27], vcc, exec
	s_branch .LBB60_10
.LBB60_17:
	s_or_b64 exec, exec, s[2:3]
.LBB60_18:
	s_bfe_u32 s0, s28, 0x10008
	s_cmp_eq_u32 s0, 0
	s_cbranch_scc1 .LBB60_31
; %bb.19:
	s_waitcnt lgkmcnt(0)
	s_lshl_b64 s[0:1], s[70:71], 3
	s_add_u32 s0, s14, s0
	s_addc_u32 s1, s15, s1
	s_load_dwordx4 s[4:7], s[0:1], 0x0
	v_subrev_co_u32_e32 v1, vcc, s67, v0
	v_subb_co_u32_e64 v2, s[0:1], 0, 0, vcc
	s_waitcnt lgkmcnt(0)
	s_sub_u32 s0, s6, s67
	v_mov_b32_e32 v3, s5
	v_add_co_u32_e32 v1, vcc, s4, v1
	s_subb_u32 s1, s7, 0
	v_addc_co_u32_e32 v2, vcc, v3, v2, vcc
	v_cmp_gt_i64_e32 vcc, s[0:1], v[1:2]
	s_and_saveexec_b64 s[2:3], vcc
	s_cbranch_execz .LBB60_30
; %bb.20:
	s_mov_b32 s16, s67
	s_mov_b64 s[4:5], 0
	v_mov_b32_e32 v7, s77
	s_movk_i32 s17, 0x89
	s_branch .LBB60_22
.LBB60_21:                              ;   in Loop: Header=BB60_22 Depth=1
	s_or_b64 exec, exec, s[6:7]
	v_add_co_u32_e32 v1, vcc, 0x400, v1
	v_addc_co_u32_e32 v2, vcc, 0, v2, vcc
	v_cmp_le_i64_e32 vcc, s[0:1], v[1:2]
	s_or_b64 s[4:5], vcc, s[4:5]
	s_andn2_b64 exec, exec, s[4:5]
	s_cbranch_execz .LBB60_30
.LBB60_22:                              ; =>This Loop Header: Depth=1
                                        ;     Child Loop BB60_25 Depth 2
	v_lshlrev_b64 v[3:4], 3, v[1:2]
	s_mov_b64 s[6:7], 0
	v_add_co_u32_e32 v3, vcc, s76, v3
	v_addc_co_u32_e32 v4, vcc, v7, v4, vcc
	global_load_dwordx2 v[3:4], v[3:4], off
                                        ; implicit-def: $sgpr8_sgpr9
	s_waitcnt vmcnt(0)
	v_subrev_co_u32_e32 v3, vcc, s16, v3
	v_mul_lo_u32 v5, v3, s17
	v_subbrev_co_u32_e32 v4, vcc, 0, v4, vcc
	v_and_b32_e32 v8, 0xfff, v5
	s_branch .LBB60_25
.LBB60_23:                              ;   in Loop: Header=BB60_25 Depth=2
	s_or_b64 exec, exec, s[12:13]
	s_andn2_b64 s[8:9], s[8:9], exec
	s_and_b64 s[12:13], s[14:15], exec
	s_or_b64 s[8:9], s[8:9], s[12:13]
.LBB60_24:                              ;   in Loop: Header=BB60_25 Depth=2
	s_or_b64 exec, exec, s[10:11]
	s_xor_b64 s[10:11], s[8:9], -1
	s_and_b64 s[10:11], exec, s[10:11]
	s_or_b64 s[6:7], s[10:11], s[6:7]
	s_andn2_b64 exec, exec, s[6:7]
	s_cbranch_execz .LBB60_21
.LBB60_25:                              ;   Parent Loop BB60_22 Depth=1
                                        ; =>  This Inner Loop Header: Depth=2
	v_lshl_add_u32 v9, v8, 3, 0
	ds_read_b64 v[5:6], v9
	s_andn2_b64 s[8:9], s[8:9], exec
	s_waitcnt lgkmcnt(0)
	v_cmp_ne_u64_e32 vcc, v[5:6], v[3:4]
	s_and_saveexec_b64 s[10:11], vcc
	s_cbranch_execz .LBB60_24
; %bb.26:                               ;   in Loop: Header=BB60_25 Depth=2
	v_cmp_ne_u64_e32 vcc, s[68:69], v[5:6]
	s_and_saveexec_b64 s[12:13], vcc
	s_xor_b64 s[12:13], exec, s[12:13]
; %bb.27:                               ;   in Loop: Header=BB60_25 Depth=2
	v_add_u32_e32 v5, 1, v8
	v_and_b32_e32 v8, 0xfff, v5
                                        ; implicit-def: $vgpr9
; %bb.28:                               ;   in Loop: Header=BB60_25 Depth=2
	s_or_saveexec_b64 s[12:13], s[12:13]
	s_mov_b64 s[14:15], -1
	s_xor_b64 exec, exec, s[12:13]
	s_cbranch_execz .LBB60_23
; %bb.29:                               ;   in Loop: Header=BB60_25 Depth=2
	v_mov_b32_e32 v5, s68
	v_mov_b32_e32 v6, s69
	ds_cmpst_rtn_b64 v[5:6], v9, v[5:6], v[3:4]
	s_waitcnt lgkmcnt(0)
	v_cmp_ne_u64_e32 vcc, s[68:69], v[5:6]
	s_orn2_b64 s[14:15], vcc, exec
	s_branch .LBB60_23
.LBB60_30:
	s_or_b64 exec, exec, s[2:3]
.LBB60_31:
	s_movk_i32 s33, 0x25f
	v_cmp_lt_u32_e64 s[34:35], s33, v0
	s_movk_i32 s33, 0x27f
	v_cmp_lt_u32_e64 s[36:37], s33, v0
	;; [unrolled: 2-line block ×7, first 2 shown]
	s_movk_i32 s33, 0x33f
	v_mbcnt_lo_u32_b32 v1, -1, 0
	v_cmp_lt_u32_e64 s[48:49], s33, v0
	s_movk_i32 s33, 0x35f
	v_mbcnt_hi_u32_b32 v1, -1, v1
	v_cmp_lt_u32_e64 s[50:51], s33, v0
	s_movk_i32 s33, 0x37f
	v_sub_u32_e32 v1, 63, v1
	v_cmp_lt_u32_e64 s[52:53], s33, v0
	s_movk_i32 s33, 0x39f
	v_lshrrev_b64 v[3:4], v1, -1
	v_lshrrev_b32_e32 v1, 2, v0
	s_movk_i32 s0, 0x3ff
	v_cmp_lt_u32_e64 s[54:55], s33, v0
	s_movk_i32 s33, 0x3bf
	v_and_b32_e32 v1, 0xf8, v1
	v_cmp_eq_u32_e32 vcc, s0, v0
	s_movk_i32 s0, 0x5f
	s_movk_i32 s2, 0x7f
	;; [unrolled: 1-line block ×16, first 2 shown]
	v_cmp_lt_u32_e64 s[56:57], s33, v0
	s_movk_i32 s33, 0x3df
	v_mov_b32_e32 v5, 0
	v_mov_b32_e32 v2, 0
	v_add_u32_e32 v13, 0, v1
	v_cmp_lt_u32_e64 s[0:1], s0, v0
	v_cmp_lt_u32_e64 s[2:3], s2, v0
	;; [unrolled: 1-line block ×17, first 2 shown]
	v_mov_b32_e32 v6, 0
	s_movk_i32 s33, 0xbff
	v_cmp_lt_u32_e64 s[60:61], 31, v0
	v_cmp_lt_u32_e64 s[62:63], 63, v0
	s_mov_b64 s[72:73], 0
	s_waitcnt lgkmcnt(0)
	s_barrier
	s_branch .LBB60_33
.LBB60_32:                              ;   in Loop: Header=BB60_33 Depth=1
	s_or_b64 exec, exec, s[64:65]
	s_waitcnt lgkmcnt(0)
	s_barrier
	ds_read_b64 v[7:8], v2 offset:33016
	v_add_u32_e32 v11, 0x400, v11
	v_add_u32_e32 v12, 0x2000, v12
	s_waitcnt lgkmcnt(0)
	v_add_co_u32_e64 v5, s[64:65], v7, v5
	v_addc_co_u32_e64 v6, s[64:65], v8, v6, s[64:65]
	v_cmp_lt_u32_e64 s[64:65], s33, v11
	s_or_b64 s[72:73], s[64:65], s[72:73]
	s_andn2_b64 exec, exec, s[72:73]
	s_cbranch_execz .LBB60_99
.LBB60_33:                              ; =>This Inner Loop Header: Depth=1
	ds_read_b64 v[7:8], v12
	s_waitcnt lgkmcnt(0)
	s_barrier
	v_cmp_gt_i64_e64 s[64:65], s[68:69], v[7:8]
	v_and_b32_e32 v10, s64, v3
	s_bcnt1_i32_b64 s67, s[64:65]
	v_and_b32_e32 v9, s65, v4
	v_bcnt_u32_b32 v10, v10, 0
	v_mov_b32_e32 v1, s67
	v_bcnt_u32_b32 v9, v9, v10
	ds_write_b64 v13, v[1:2] offset:32768
	s_waitcnt lgkmcnt(0)
	s_barrier
	s_and_saveexec_b64 s[74:75], s[60:61]
	s_cbranch_execnz .LBB60_66
; %bb.34:                               ;   in Loop: Header=BB60_33 Depth=1
	s_or_b64 exec, exec, s[74:75]
	s_and_saveexec_b64 s[74:75], s[62:63]
	s_cbranch_execnz .LBB60_67
.LBB60_35:                              ;   in Loop: Header=BB60_33 Depth=1
	s_or_b64 exec, exec, s[74:75]
	s_and_saveexec_b64 s[74:75], s[0:1]
	s_cbranch_execnz .LBB60_68
.LBB60_36:                              ;   in Loop: Header=BB60_33 Depth=1
	s_or_b64 exec, exec, s[74:75]
	s_and_saveexec_b64 s[74:75], s[2:3]
	s_cbranch_execnz .LBB60_69
.LBB60_37:                              ;   in Loop: Header=BB60_33 Depth=1
	s_or_b64 exec, exec, s[74:75]
	s_and_saveexec_b64 s[74:75], s[4:5]
	s_cbranch_execnz .LBB60_70
.LBB60_38:                              ;   in Loop: Header=BB60_33 Depth=1
	s_or_b64 exec, exec, s[74:75]
	s_and_saveexec_b64 s[74:75], s[6:7]
	s_cbranch_execnz .LBB60_71
.LBB60_39:                              ;   in Loop: Header=BB60_33 Depth=1
	s_or_b64 exec, exec, s[74:75]
	s_and_saveexec_b64 s[74:75], s[8:9]
	s_cbranch_execnz .LBB60_72
.LBB60_40:                              ;   in Loop: Header=BB60_33 Depth=1
	s_or_b64 exec, exec, s[74:75]
	s_and_saveexec_b64 s[74:75], s[10:11]
	s_cbranch_execnz .LBB60_73
.LBB60_41:                              ;   in Loop: Header=BB60_33 Depth=1
	s_or_b64 exec, exec, s[74:75]
	s_and_saveexec_b64 s[74:75], s[12:13]
	s_cbranch_execnz .LBB60_74
.LBB60_42:                              ;   in Loop: Header=BB60_33 Depth=1
	s_or_b64 exec, exec, s[74:75]
	s_and_saveexec_b64 s[74:75], s[14:15]
	s_cbranch_execnz .LBB60_75
.LBB60_43:                              ;   in Loop: Header=BB60_33 Depth=1
	s_or_b64 exec, exec, s[74:75]
	s_and_saveexec_b64 s[74:75], s[16:17]
	s_cbranch_execnz .LBB60_76
.LBB60_44:                              ;   in Loop: Header=BB60_33 Depth=1
	s_or_b64 exec, exec, s[74:75]
	s_and_saveexec_b64 s[74:75], s[18:19]
	s_cbranch_execnz .LBB60_77
.LBB60_45:                              ;   in Loop: Header=BB60_33 Depth=1
	s_or_b64 exec, exec, s[74:75]
	s_and_saveexec_b64 s[74:75], s[20:21]
	s_cbranch_execnz .LBB60_78
.LBB60_46:                              ;   in Loop: Header=BB60_33 Depth=1
	s_or_b64 exec, exec, s[74:75]
	s_and_saveexec_b64 s[74:75], s[22:23]
	s_cbranch_execnz .LBB60_79
.LBB60_47:                              ;   in Loop: Header=BB60_33 Depth=1
	s_or_b64 exec, exec, s[74:75]
	s_and_saveexec_b64 s[74:75], s[24:25]
	s_cbranch_execnz .LBB60_80
.LBB60_48:                              ;   in Loop: Header=BB60_33 Depth=1
	s_or_b64 exec, exec, s[74:75]
	s_and_saveexec_b64 s[74:75], s[26:27]
	s_cbranch_execnz .LBB60_81
.LBB60_49:                              ;   in Loop: Header=BB60_33 Depth=1
	s_or_b64 exec, exec, s[74:75]
	s_and_saveexec_b64 s[74:75], s[28:29]
	s_cbranch_execnz .LBB60_82
.LBB60_50:                              ;   in Loop: Header=BB60_33 Depth=1
	s_or_b64 exec, exec, s[74:75]
	s_and_saveexec_b64 s[74:75], s[30:31]
	s_cbranch_execnz .LBB60_83
.LBB60_51:                              ;   in Loop: Header=BB60_33 Depth=1
	s_or_b64 exec, exec, s[74:75]
	s_and_saveexec_b64 s[74:75], s[34:35]
	s_cbranch_execnz .LBB60_84
.LBB60_52:                              ;   in Loop: Header=BB60_33 Depth=1
	s_or_b64 exec, exec, s[74:75]
	s_and_saveexec_b64 s[74:75], s[36:37]
	s_cbranch_execnz .LBB60_85
.LBB60_53:                              ;   in Loop: Header=BB60_33 Depth=1
	s_or_b64 exec, exec, s[74:75]
	s_and_saveexec_b64 s[74:75], s[38:39]
	s_cbranch_execnz .LBB60_86
.LBB60_54:                              ;   in Loop: Header=BB60_33 Depth=1
	s_or_b64 exec, exec, s[74:75]
	s_and_saveexec_b64 s[74:75], s[40:41]
	s_cbranch_execnz .LBB60_87
.LBB60_55:                              ;   in Loop: Header=BB60_33 Depth=1
	s_or_b64 exec, exec, s[74:75]
	s_and_saveexec_b64 s[74:75], s[42:43]
	s_cbranch_execnz .LBB60_88
.LBB60_56:                              ;   in Loop: Header=BB60_33 Depth=1
	s_or_b64 exec, exec, s[74:75]
	s_and_saveexec_b64 s[74:75], s[44:45]
	s_cbranch_execnz .LBB60_89
.LBB60_57:                              ;   in Loop: Header=BB60_33 Depth=1
	s_or_b64 exec, exec, s[74:75]
	s_and_saveexec_b64 s[74:75], s[46:47]
	s_cbranch_execnz .LBB60_90
.LBB60_58:                              ;   in Loop: Header=BB60_33 Depth=1
	s_or_b64 exec, exec, s[74:75]
	s_and_saveexec_b64 s[74:75], s[48:49]
	s_cbranch_execnz .LBB60_91
.LBB60_59:                              ;   in Loop: Header=BB60_33 Depth=1
	s_or_b64 exec, exec, s[74:75]
	s_and_saveexec_b64 s[74:75], s[50:51]
	s_cbranch_execnz .LBB60_92
.LBB60_60:                              ;   in Loop: Header=BB60_33 Depth=1
	s_or_b64 exec, exec, s[74:75]
	s_and_saveexec_b64 s[74:75], s[52:53]
	s_cbranch_execnz .LBB60_93
.LBB60_61:                              ;   in Loop: Header=BB60_33 Depth=1
	s_or_b64 exec, exec, s[74:75]
	s_and_saveexec_b64 s[74:75], s[54:55]
	s_cbranch_execnz .LBB60_94
.LBB60_62:                              ;   in Loop: Header=BB60_33 Depth=1
	s_or_b64 exec, exec, s[74:75]
	s_and_saveexec_b64 s[74:75], s[56:57]
	s_cbranch_execnz .LBB60_95
.LBB60_63:                              ;   in Loop: Header=BB60_33 Depth=1
	s_or_b64 exec, exec, s[74:75]
	s_and_saveexec_b64 s[74:75], s[58:59]
	s_cbranch_execnz .LBB60_96
.LBB60_64:                              ;   in Loop: Header=BB60_33 Depth=1
	s_or_b64 exec, exec, s[74:75]
	v_ashrrev_i32_e32 v10, 31, v9
	s_and_saveexec_b64 s[74:75], s[64:65]
	s_cbranch_execnz .LBB60_97
.LBB60_65:                              ;   in Loop: Header=BB60_33 Depth=1
	s_or_b64 exec, exec, s[74:75]
	s_and_saveexec_b64 s[64:65], vcc
	s_cbranch_execz .LBB60_32
	s_branch .LBB60_98
.LBB60_66:                              ;   in Loop: Header=BB60_33 Depth=1
	ds_read_b32 v1, v2 offset:32768
	s_waitcnt lgkmcnt(0)
	v_add_u32_e32 v9, v1, v9
	s_or_b64 exec, exec, s[74:75]
	s_and_saveexec_b64 s[74:75], s[62:63]
	s_cbranch_execz .LBB60_35
.LBB60_67:                              ;   in Loop: Header=BB60_33 Depth=1
	ds_read_b32 v1, v2 offset:32776
	s_waitcnt lgkmcnt(0)
	v_add_u32_e32 v9, v9, v1
	s_or_b64 exec, exec, s[74:75]
	s_and_saveexec_b64 s[74:75], s[0:1]
	s_cbranch_execz .LBB60_36
.LBB60_68:                              ;   in Loop: Header=BB60_33 Depth=1
	ds_read_b32 v1, v2 offset:32784
	s_waitcnt lgkmcnt(0)
	v_add_u32_e32 v9, v9, v1
	s_or_b64 exec, exec, s[74:75]
	s_and_saveexec_b64 s[74:75], s[2:3]
	s_cbranch_execz .LBB60_37
.LBB60_69:                              ;   in Loop: Header=BB60_33 Depth=1
	ds_read_b32 v1, v2 offset:32792
	s_waitcnt lgkmcnt(0)
	v_add_u32_e32 v9, v9, v1
	s_or_b64 exec, exec, s[74:75]
	s_and_saveexec_b64 s[74:75], s[4:5]
	s_cbranch_execz .LBB60_38
.LBB60_70:                              ;   in Loop: Header=BB60_33 Depth=1
	ds_read_b32 v1, v2 offset:32800
	s_waitcnt lgkmcnt(0)
	v_add_u32_e32 v9, v9, v1
	s_or_b64 exec, exec, s[74:75]
	s_and_saveexec_b64 s[74:75], s[6:7]
	s_cbranch_execz .LBB60_39
.LBB60_71:                              ;   in Loop: Header=BB60_33 Depth=1
	ds_read_b32 v1, v2 offset:32808
	s_waitcnt lgkmcnt(0)
	v_add_u32_e32 v9, v9, v1
	s_or_b64 exec, exec, s[74:75]
	s_and_saveexec_b64 s[74:75], s[8:9]
	s_cbranch_execz .LBB60_40
.LBB60_72:                              ;   in Loop: Header=BB60_33 Depth=1
	ds_read_b32 v1, v2 offset:32816
	s_waitcnt lgkmcnt(0)
	v_add_u32_e32 v9, v9, v1
	s_or_b64 exec, exec, s[74:75]
	s_and_saveexec_b64 s[74:75], s[10:11]
	s_cbranch_execz .LBB60_41
.LBB60_73:                              ;   in Loop: Header=BB60_33 Depth=1
	ds_read_b32 v1, v2 offset:32824
	s_waitcnt lgkmcnt(0)
	v_add_u32_e32 v9, v9, v1
	s_or_b64 exec, exec, s[74:75]
	s_and_saveexec_b64 s[74:75], s[12:13]
	s_cbranch_execz .LBB60_42
.LBB60_74:                              ;   in Loop: Header=BB60_33 Depth=1
	ds_read_b32 v1, v2 offset:32832
	s_waitcnt lgkmcnt(0)
	v_add_u32_e32 v9, v9, v1
	s_or_b64 exec, exec, s[74:75]
	s_and_saveexec_b64 s[74:75], s[14:15]
	s_cbranch_execz .LBB60_43
.LBB60_75:                              ;   in Loop: Header=BB60_33 Depth=1
	ds_read_b32 v1, v2 offset:32840
	s_waitcnt lgkmcnt(0)
	v_add_u32_e32 v9, v9, v1
	s_or_b64 exec, exec, s[74:75]
	s_and_saveexec_b64 s[74:75], s[16:17]
	s_cbranch_execz .LBB60_44
.LBB60_76:                              ;   in Loop: Header=BB60_33 Depth=1
	ds_read_b32 v1, v2 offset:32848
	s_waitcnt lgkmcnt(0)
	v_add_u32_e32 v9, v9, v1
	s_or_b64 exec, exec, s[74:75]
	s_and_saveexec_b64 s[74:75], s[18:19]
	s_cbranch_execz .LBB60_45
.LBB60_77:                              ;   in Loop: Header=BB60_33 Depth=1
	ds_read_b32 v1, v2 offset:32856
	s_waitcnt lgkmcnt(0)
	v_add_u32_e32 v9, v9, v1
	s_or_b64 exec, exec, s[74:75]
	s_and_saveexec_b64 s[74:75], s[20:21]
	s_cbranch_execz .LBB60_46
.LBB60_78:                              ;   in Loop: Header=BB60_33 Depth=1
	ds_read_b32 v1, v2 offset:32864
	s_waitcnt lgkmcnt(0)
	v_add_u32_e32 v9, v9, v1
	s_or_b64 exec, exec, s[74:75]
	s_and_saveexec_b64 s[74:75], s[22:23]
	s_cbranch_execz .LBB60_47
.LBB60_79:                              ;   in Loop: Header=BB60_33 Depth=1
	ds_read_b32 v1, v2 offset:32872
	s_waitcnt lgkmcnt(0)
	v_add_u32_e32 v9, v9, v1
	s_or_b64 exec, exec, s[74:75]
	s_and_saveexec_b64 s[74:75], s[24:25]
	s_cbranch_execz .LBB60_48
.LBB60_80:                              ;   in Loop: Header=BB60_33 Depth=1
	ds_read_b32 v1, v2 offset:32880
	s_waitcnt lgkmcnt(0)
	v_add_u32_e32 v9, v9, v1
	s_or_b64 exec, exec, s[74:75]
	s_and_saveexec_b64 s[74:75], s[26:27]
	s_cbranch_execz .LBB60_49
.LBB60_81:                              ;   in Loop: Header=BB60_33 Depth=1
	ds_read_b32 v1, v2 offset:32888
	s_waitcnt lgkmcnt(0)
	v_add_u32_e32 v9, v9, v1
	s_or_b64 exec, exec, s[74:75]
	s_and_saveexec_b64 s[74:75], s[28:29]
	s_cbranch_execz .LBB60_50
.LBB60_82:                              ;   in Loop: Header=BB60_33 Depth=1
	ds_read_b32 v1, v2 offset:32896
	s_waitcnt lgkmcnt(0)
	v_add_u32_e32 v9, v9, v1
	s_or_b64 exec, exec, s[74:75]
	s_and_saveexec_b64 s[74:75], s[30:31]
	s_cbranch_execz .LBB60_51
.LBB60_83:                              ;   in Loop: Header=BB60_33 Depth=1
	ds_read_b32 v1, v2 offset:32904
	s_waitcnt lgkmcnt(0)
	v_add_u32_e32 v9, v9, v1
	s_or_b64 exec, exec, s[74:75]
	s_and_saveexec_b64 s[74:75], s[34:35]
	s_cbranch_execz .LBB60_52
.LBB60_84:                              ;   in Loop: Header=BB60_33 Depth=1
	ds_read_b32 v1, v2 offset:32912
	s_waitcnt lgkmcnt(0)
	v_add_u32_e32 v9, v9, v1
	s_or_b64 exec, exec, s[74:75]
	s_and_saveexec_b64 s[74:75], s[36:37]
	s_cbranch_execz .LBB60_53
.LBB60_85:                              ;   in Loop: Header=BB60_33 Depth=1
	ds_read_b32 v1, v2 offset:32920
	s_waitcnt lgkmcnt(0)
	v_add_u32_e32 v9, v9, v1
	s_or_b64 exec, exec, s[74:75]
	s_and_saveexec_b64 s[74:75], s[38:39]
	s_cbranch_execz .LBB60_54
.LBB60_86:                              ;   in Loop: Header=BB60_33 Depth=1
	ds_read_b32 v1, v2 offset:32928
	s_waitcnt lgkmcnt(0)
	v_add_u32_e32 v9, v9, v1
	s_or_b64 exec, exec, s[74:75]
	s_and_saveexec_b64 s[74:75], s[40:41]
	s_cbranch_execz .LBB60_55
.LBB60_87:                              ;   in Loop: Header=BB60_33 Depth=1
	ds_read_b32 v1, v2 offset:32936
	s_waitcnt lgkmcnt(0)
	v_add_u32_e32 v9, v9, v1
	s_or_b64 exec, exec, s[74:75]
	s_and_saveexec_b64 s[74:75], s[42:43]
	s_cbranch_execz .LBB60_56
.LBB60_88:                              ;   in Loop: Header=BB60_33 Depth=1
	ds_read_b32 v1, v2 offset:32944
	s_waitcnt lgkmcnt(0)
	v_add_u32_e32 v9, v9, v1
	s_or_b64 exec, exec, s[74:75]
	s_and_saveexec_b64 s[74:75], s[44:45]
	s_cbranch_execz .LBB60_57
.LBB60_89:                              ;   in Loop: Header=BB60_33 Depth=1
	ds_read_b32 v1, v2 offset:32952
	s_waitcnt lgkmcnt(0)
	v_add_u32_e32 v9, v9, v1
	s_or_b64 exec, exec, s[74:75]
	s_and_saveexec_b64 s[74:75], s[46:47]
	s_cbranch_execz .LBB60_58
.LBB60_90:                              ;   in Loop: Header=BB60_33 Depth=1
	ds_read_b32 v1, v2 offset:32960
	s_waitcnt lgkmcnt(0)
	v_add_u32_e32 v9, v9, v1
	s_or_b64 exec, exec, s[74:75]
	s_and_saveexec_b64 s[74:75], s[48:49]
	s_cbranch_execz .LBB60_59
.LBB60_91:                              ;   in Loop: Header=BB60_33 Depth=1
	ds_read_b32 v1, v2 offset:32968
	s_waitcnt lgkmcnt(0)
	v_add_u32_e32 v9, v9, v1
	s_or_b64 exec, exec, s[74:75]
	s_and_saveexec_b64 s[74:75], s[50:51]
	s_cbranch_execz .LBB60_60
.LBB60_92:                              ;   in Loop: Header=BB60_33 Depth=1
	ds_read_b32 v1, v2 offset:32976
	s_waitcnt lgkmcnt(0)
	v_add_u32_e32 v9, v9, v1
	s_or_b64 exec, exec, s[74:75]
	s_and_saveexec_b64 s[74:75], s[52:53]
	s_cbranch_execz .LBB60_61
.LBB60_93:                              ;   in Loop: Header=BB60_33 Depth=1
	ds_read_b32 v1, v2 offset:32984
	s_waitcnt lgkmcnt(0)
	v_add_u32_e32 v9, v9, v1
	s_or_b64 exec, exec, s[74:75]
	s_and_saveexec_b64 s[74:75], s[54:55]
	s_cbranch_execz .LBB60_62
.LBB60_94:                              ;   in Loop: Header=BB60_33 Depth=1
	ds_read_b32 v1, v2 offset:32992
	s_waitcnt lgkmcnt(0)
	v_add_u32_e32 v9, v9, v1
	s_or_b64 exec, exec, s[74:75]
	s_and_saveexec_b64 s[74:75], s[56:57]
	s_cbranch_execz .LBB60_63
.LBB60_95:                              ;   in Loop: Header=BB60_33 Depth=1
	ds_read_b32 v1, v2 offset:33000
	s_waitcnt lgkmcnt(0)
	v_add_u32_e32 v9, v9, v1
	s_or_b64 exec, exec, s[74:75]
	s_and_saveexec_b64 s[74:75], s[58:59]
	s_cbranch_execz .LBB60_64
.LBB60_96:                              ;   in Loop: Header=BB60_33 Depth=1
	ds_read_b32 v1, v2 offset:33008
	s_waitcnt lgkmcnt(0)
	v_add_u32_e32 v9, v9, v1
	s_or_b64 exec, exec, s[74:75]
	v_ashrrev_i32_e32 v10, 31, v9
	s_and_saveexec_b64 s[74:75], s[64:65]
	s_cbranch_execz .LBB60_65
.LBB60_97:                              ;   in Loop: Header=BB60_33 Depth=1
	v_lshlrev_b32_e32 v1, 3, v5
	v_add_u32_e32 v1, 0, v1
	v_lshlrev_b32_e32 v14, 3, v9
	v_add3_u32 v1, v1, v14, -8
	ds_write_b64 v1, v[7:8]
	s_or_b64 exec, exec, s[74:75]
	s_and_saveexec_b64 s[64:65], vcc
	s_cbranch_execz .LBB60_32
.LBB60_98:                              ;   in Loop: Header=BB60_33 Depth=1
	ds_write_b64 v2, v[9:10] offset:33016
	s_branch .LBB60_32
.LBB60_99:
	s_or_b64 exec, exec, s[72:73]
	s_lshl_b64 s[0:1], s[70:71], 3
	s_add_u32 s4, s78, s0
	s_addc_u32 s5, s79, s1
	s_load_dwordx4 s[0:3], s[4:5], 0x0
	v_mov_b32_e32 v1, 0
	s_waitcnt lgkmcnt(0)
	s_sub_u32 s4, s2, s0
	s_subb_u32 s5, s3, s1
	v_cmp_gt_i64_e32 vcc, s[4:5], v[0:1]
	s_and_saveexec_b64 s[6:7], vcc
	s_cbranch_execz .LBB60_109
; %bb.100:
	s_sub_u32 s8, s0, s66
	s_subb_u32 s9, s1, 0
	s_and_b32 s6, s4, 7
	s_sub_u32 s0, s0, s2
	s_subb_u32 s1, s1, s3
	v_cmp_lt_u64_e64 s[0:1], s[0:1], -7
	s_mov_b32 s7, 0
	s_and_b32 s10, s4, -8
	s_cmp_lg_u64 s[6:7], 0
	v_cndmask_b32_e64 v2, 0, 1, s[0:1]
	s_mov_b32 s11, s5
	s_mov_b64 s[12:13], 0
	s_cselect_b64 s[14:15], -1, 0
	v_cmp_ne_u32_e64 s[0:1], 1, v2
	s_branch .LBB60_102
.LBB60_101:                             ;   in Loop: Header=BB60_102 Depth=1
	s_waitcnt lgkmcnt(0)
	v_add_co_u32_e32 v2, vcc, s66, v2
	v_addc_co_u32_e32 v3, vcc, 0, v3, vcc
	v_add_co_u32_e32 v0, vcc, 0x400, v0
	v_lshlrev_b64 v[4:5], 3, v[4:5]
	v_addc_co_u32_e32 v1, vcc, 0, v1, vcc
	v_cmp_le_i64_e32 vcc, s[4:5], v[0:1]
	v_mov_b32_e32 v6, s81
	v_add_co_u32_e64 v4, s[2:3], s80, v4
	v_addc_co_u32_e64 v5, s[2:3], v6, v5, s[2:3]
	s_or_b64 s[12:13], vcc, s[12:13]
	global_store_dwordx2 v[4:5], v[2:3], off
	s_andn2_b64 exec, exec, s[12:13]
	s_cbranch_execz .LBB60_109
.LBB60_102:                             ; =>This Loop Header: Depth=1
                                        ;     Child Loop BB60_104 Depth 2
                                        ;     Child Loop BB60_108 Depth 2
	v_lshl_add_u32 v2, v0, 3, 0
	ds_read_b64 v[2:3], v2
	v_mov_b32_e32 v4, s8
	s_and_b64 vcc, exec, s[0:1]
	v_mov_b32_e32 v5, s9
	s_mov_b64 s[2:3], 0
	s_cbranch_vccnz .LBB60_106
; %bb.103:                              ;   in Loop: Header=BB60_102 Depth=1
	v_mov_b32_e32 v4, s8
	s_mov_b64 s[16:17], 0
	s_mov_b32 s18, 0
	v_mov_b32_e32 v5, s9
.LBB60_104:                             ;   Parent Loop BB60_102 Depth=1
                                        ; =>  This Inner Loop Header: Depth=2
	v_mov_b32_e32 v18, s18
	ds_read2_b64 v[6:9], v18 offset1:1
	ds_read2_b64 v[10:13], v18 offset0:2 offset1:3
	ds_read2_b64 v[14:17], v18 offset0:4 offset1:5
	;; [unrolled: 1-line block ×3, first 2 shown]
	s_add_u32 s16, s16, 8
	s_waitcnt lgkmcnt(3)
	v_cmp_gt_i64_e32 vcc, v[2:3], v[8:9]
	v_cmp_gt_i64_e64 s[2:3], v[2:3], v[6:7]
	v_cndmask_b32_e64 v7, 0, 1, vcc
	s_waitcnt lgkmcnt(2)
	v_cmp_gt_i64_e32 vcc, v[2:3], v[10:11]
	v_cndmask_b32_e64 v6, 0, 1, s[2:3]
	v_cndmask_b32_e64 v8, 0, 1, vcc
	v_cmp_gt_i64_e32 vcc, v[2:3], v[12:13]
	s_addc_u32 s17, s17, 0
	v_cndmask_b32_e64 v9, 0, 1, vcc
	s_waitcnt lgkmcnt(1)
	v_cmp_gt_i64_e32 vcc, v[2:3], v[14:15]
	s_add_i32 s18, s18, 64
	v_cndmask_b32_e64 v10, 0, 1, vcc
	v_cmp_gt_i64_e32 vcc, v[2:3], v[16:17]
	s_cmp_eq_u64 s[10:11], s[16:17]
	v_cndmask_b32_e64 v11, 0, 1, vcc
	s_waitcnt lgkmcnt(0)
	v_cmp_gt_i64_e32 vcc, v[2:3], v[18:19]
	v_cndmask_b32_e64 v12, 0, 1, vcc
	v_cmp_gt_i64_e32 vcc, v[2:3], v[20:21]
	v_cndmask_b32_e64 v13, 0, 1, vcc
	v_add_co_u32_e32 v4, vcc, v4, v6
	v_addc_co_u32_e32 v5, vcc, 0, v5, vcc
	v_add_co_u32_e32 v4, vcc, v4, v7
	v_addc_co_u32_e32 v5, vcc, 0, v5, vcc
	;; [unrolled: 2-line block ×8, first 2 shown]
	s_cbranch_scc0 .LBB60_104
; %bb.105:                              ;   in Loop: Header=BB60_102 Depth=1
	s_mov_b64 s[2:3], s[10:11]
.LBB60_106:                             ;   in Loop: Header=BB60_102 Depth=1
	s_andn2_b64 vcc, exec, s[14:15]
	s_cbranch_vccnz .LBB60_101
; %bb.107:                              ;   in Loop: Header=BB60_102 Depth=1
	s_lshl_b32 s2, s2, 3
	s_add_i32 s16, s2, 0
	s_mov_b64 s[2:3], s[6:7]
.LBB60_108:                             ;   Parent Loop BB60_102 Depth=1
                                        ; =>  This Inner Loop Header: Depth=2
	v_mov_b32_e32 v6, s16
	ds_read_b64 v[6:7], v6
	s_add_i32 s16, s16, 8
	s_add_u32 s2, s2, -1
	s_addc_u32 s3, s3, -1
	s_cmp_lg_u64 s[2:3], 0
	s_waitcnt lgkmcnt(0)
	v_cmp_gt_i64_e32 vcc, v[2:3], v[6:7]
	v_cndmask_b32_e64 v6, 0, 1, vcc
	v_add_co_u32_e32 v4, vcc, v4, v6
	v_addc_co_u32_e32 v5, vcc, 0, v5, vcc
	s_cbranch_scc1 .LBB60_108
	s_branch .LBB60_101
.LBB60_109:
	s_endpgm
	.section	.rodata,"a",@progbits
	.p2align	6, 0x0
	.amdhsa_kernel _ZN9rocsparseL35csrgemm_symbolic_fill_block_per_rowILj1024ELj64ELj4096ELj137ELj32EllEEvT5_PKS1_S3_PKT4_S3_S6_S3_S6_S3_S6_PS1_21rocsparse_index_base_S8_S8_S8_bb
		.amdhsa_group_segment_fixed_size 0
		.amdhsa_private_segment_fixed_size 0
		.amdhsa_kernarg_size 108
		.amdhsa_user_sgpr_count 6
		.amdhsa_user_sgpr_private_segment_buffer 1
		.amdhsa_user_sgpr_dispatch_ptr 0
		.amdhsa_user_sgpr_queue_ptr 0
		.amdhsa_user_sgpr_kernarg_segment_ptr 1
		.amdhsa_user_sgpr_dispatch_id 0
		.amdhsa_user_sgpr_flat_scratch_init 0
		.amdhsa_user_sgpr_private_segment_size 0
		.amdhsa_uses_dynamic_stack 0
		.amdhsa_system_sgpr_private_segment_wavefront_offset 0
		.amdhsa_system_sgpr_workgroup_id_x 1
		.amdhsa_system_sgpr_workgroup_id_y 0
		.amdhsa_system_sgpr_workgroup_id_z 0
		.amdhsa_system_sgpr_workgroup_info 0
		.amdhsa_system_vgpr_workitem_id 0
		.amdhsa_next_free_vgpr 22
		.amdhsa_next_free_sgpr 82
		.amdhsa_reserve_vcc 1
		.amdhsa_reserve_flat_scratch 0
		.amdhsa_float_round_mode_32 0
		.amdhsa_float_round_mode_16_64 0
		.amdhsa_float_denorm_mode_32 3
		.amdhsa_float_denorm_mode_16_64 3
		.amdhsa_dx10_clamp 1
		.amdhsa_ieee_mode 1
		.amdhsa_fp16_overflow 0
		.amdhsa_exception_fp_ieee_invalid_op 0
		.amdhsa_exception_fp_denorm_src 0
		.amdhsa_exception_fp_ieee_div_zero 0
		.amdhsa_exception_fp_ieee_overflow 0
		.amdhsa_exception_fp_ieee_underflow 0
		.amdhsa_exception_fp_ieee_inexact 0
		.amdhsa_exception_int_div_zero 0
	.end_amdhsa_kernel
	.section	.text._ZN9rocsparseL35csrgemm_symbolic_fill_block_per_rowILj1024ELj64ELj4096ELj137ELj32EllEEvT5_PKS1_S3_PKT4_S3_S6_S3_S6_S3_S6_PS1_21rocsparse_index_base_S8_S8_S8_bb,"axG",@progbits,_ZN9rocsparseL35csrgemm_symbolic_fill_block_per_rowILj1024ELj64ELj4096ELj137ELj32EllEEvT5_PKS1_S3_PKT4_S3_S6_S3_S6_S3_S6_PS1_21rocsparse_index_base_S8_S8_S8_bb,comdat
.Lfunc_end60:
	.size	_ZN9rocsparseL35csrgemm_symbolic_fill_block_per_rowILj1024ELj64ELj4096ELj137ELj32EllEEvT5_PKS1_S3_PKT4_S3_S6_S3_S6_S3_S6_PS1_21rocsparse_index_base_S8_S8_S8_bb, .Lfunc_end60-_ZN9rocsparseL35csrgemm_symbolic_fill_block_per_rowILj1024ELj64ELj4096ELj137ELj32EllEEvT5_PKS1_S3_PKT4_S3_S6_S3_S6_S3_S6_PS1_21rocsparse_index_base_S8_S8_S8_bb
                                        ; -- End function
	.set _ZN9rocsparseL35csrgemm_symbolic_fill_block_per_rowILj1024ELj64ELj4096ELj137ELj32EllEEvT5_PKS1_S3_PKT4_S3_S6_S3_S6_S3_S6_PS1_21rocsparse_index_base_S8_S8_S8_bb.num_vgpr, 22
	.set _ZN9rocsparseL35csrgemm_symbolic_fill_block_per_rowILj1024ELj64ELj4096ELj137ELj32EllEEvT5_PKS1_S3_PKT4_S3_S6_S3_S6_S3_S6_PS1_21rocsparse_index_base_S8_S8_S8_bb.num_agpr, 0
	.set _ZN9rocsparseL35csrgemm_symbolic_fill_block_per_rowILj1024ELj64ELj4096ELj137ELj32EllEEvT5_PKS1_S3_PKT4_S3_S6_S3_S6_S3_S6_PS1_21rocsparse_index_base_S8_S8_S8_bb.numbered_sgpr, 82
	.set _ZN9rocsparseL35csrgemm_symbolic_fill_block_per_rowILj1024ELj64ELj4096ELj137ELj32EllEEvT5_PKS1_S3_PKT4_S3_S6_S3_S6_S3_S6_PS1_21rocsparse_index_base_S8_S8_S8_bb.num_named_barrier, 0
	.set _ZN9rocsparseL35csrgemm_symbolic_fill_block_per_rowILj1024ELj64ELj4096ELj137ELj32EllEEvT5_PKS1_S3_PKT4_S3_S6_S3_S6_S3_S6_PS1_21rocsparse_index_base_S8_S8_S8_bb.private_seg_size, 0
	.set _ZN9rocsparseL35csrgemm_symbolic_fill_block_per_rowILj1024ELj64ELj4096ELj137ELj32EllEEvT5_PKS1_S3_PKT4_S3_S6_S3_S6_S3_S6_PS1_21rocsparse_index_base_S8_S8_S8_bb.uses_vcc, 1
	.set _ZN9rocsparseL35csrgemm_symbolic_fill_block_per_rowILj1024ELj64ELj4096ELj137ELj32EllEEvT5_PKS1_S3_PKT4_S3_S6_S3_S6_S3_S6_PS1_21rocsparse_index_base_S8_S8_S8_bb.uses_flat_scratch, 0
	.set _ZN9rocsparseL35csrgemm_symbolic_fill_block_per_rowILj1024ELj64ELj4096ELj137ELj32EllEEvT5_PKS1_S3_PKT4_S3_S6_S3_S6_S3_S6_PS1_21rocsparse_index_base_S8_S8_S8_bb.has_dyn_sized_stack, 0
	.set _ZN9rocsparseL35csrgemm_symbolic_fill_block_per_rowILj1024ELj64ELj4096ELj137ELj32EllEEvT5_PKS1_S3_PKT4_S3_S6_S3_S6_S3_S6_PS1_21rocsparse_index_base_S8_S8_S8_bb.has_recursion, 0
	.set _ZN9rocsparseL35csrgemm_symbolic_fill_block_per_rowILj1024ELj64ELj4096ELj137ELj32EllEEvT5_PKS1_S3_PKT4_S3_S6_S3_S6_S3_S6_PS1_21rocsparse_index_base_S8_S8_S8_bb.has_indirect_call, 0
	.section	.AMDGPU.csdata,"",@progbits
; Kernel info:
; codeLenInByte = 3544
; TotalNumSgprs: 86
; NumVgprs: 22
; ScratchSize: 0
; MemoryBound: 0
; FloatMode: 240
; IeeeMode: 1
; LDSByteSize: 0 bytes/workgroup (compile time only)
; SGPRBlocks: 10
; VGPRBlocks: 5
; NumSGPRsForWavesPerEU: 86
; NumVGPRsForWavesPerEU: 22
; Occupancy: 9
; WaveLimiterHint : 1
; COMPUTE_PGM_RSRC2:SCRATCH_EN: 0
; COMPUTE_PGM_RSRC2:USER_SGPR: 6
; COMPUTE_PGM_RSRC2:TRAP_HANDLER: 0
; COMPUTE_PGM_RSRC2:TGID_X_EN: 1
; COMPUTE_PGM_RSRC2:TGID_Y_EN: 0
; COMPUTE_PGM_RSRC2:TGID_Z_EN: 0
; COMPUTE_PGM_RSRC2:TIDIG_COMP_CNT: 0
	.section	.text._ZN9rocsparseL35csrgemm_symbolic_fill_block_per_rowILj1024ELj64ELj4096ELj137ELj64EllEEvT5_PKS1_S3_PKT4_S3_S6_S3_S6_S3_S6_PS1_21rocsparse_index_base_S8_S8_S8_bb,"axG",@progbits,_ZN9rocsparseL35csrgemm_symbolic_fill_block_per_rowILj1024ELj64ELj4096ELj137ELj64EllEEvT5_PKS1_S3_PKT4_S3_S6_S3_S6_S3_S6_PS1_21rocsparse_index_base_S8_S8_S8_bb,comdat
	.globl	_ZN9rocsparseL35csrgemm_symbolic_fill_block_per_rowILj1024ELj64ELj4096ELj137ELj64EllEEvT5_PKS1_S3_PKT4_S3_S6_S3_S6_S3_S6_PS1_21rocsparse_index_base_S8_S8_S8_bb ; -- Begin function _ZN9rocsparseL35csrgemm_symbolic_fill_block_per_rowILj1024ELj64ELj4096ELj137ELj64EllEEvT5_PKS1_S3_PKT4_S3_S6_S3_S6_S3_S6_PS1_21rocsparse_index_base_S8_S8_S8_bb
	.p2align	8
	.type	_ZN9rocsparseL35csrgemm_symbolic_fill_block_per_rowILj1024ELj64ELj4096ELj137ELj64EllEEvT5_PKS1_S3_PKT4_S3_S6_S3_S6_S3_S6_PS1_21rocsparse_index_base_S8_S8_S8_bb,@function
_ZN9rocsparseL35csrgemm_symbolic_fill_block_per_rowILj1024ELj64ELj4096ELj137ELj64EllEEvT5_PKS1_S3_PKT4_S3_S6_S3_S6_S3_S6_PS1_21rocsparse_index_base_S8_S8_S8_bb: ; @_ZN9rocsparseL35csrgemm_symbolic_fill_block_per_rowILj1024ELj64ELj4096ELj137ELj64EllEEvT5_PKS1_S3_PKT4_S3_S6_S3_S6_S3_S6_PS1_21rocsparse_index_base_S8_S8_S8_bb
; %bb.0:
	s_load_dwordx2 s[34:35], s[4:5], 0x50
	s_load_dwordx4 s[48:51], s[4:5], 0x40
	s_load_dwordx8 s[36:43], s[4:5], 0x0
	s_load_dwordx8 s[8:15], s[4:5], 0x20
	v_or_b32_e32 v11, 0xfffffc00, v0
	v_lshl_add_u32 v12, v0, 3, 0
	s_mov_b64 s[0:1], 0
	s_waitcnt lgkmcnt(0)
	v_mov_b32_e32 v1, s36
	v_mov_b32_e32 v2, s37
	s_movk_i32 s2, 0xbff
	v_mov_b32_e32 v3, v12
	v_mov_b32_e32 v4, v11
.LBB61_1:                               ; =>This Inner Loop Header: Depth=1
	v_add_u32_e32 v4, 0x400, v4
	v_cmp_lt_u32_e32 vcc, s2, v4
	ds_write_b64 v3, v[1:2]
	s_or_b64 s[0:1], vcc, s[0:1]
	v_add_u32_e32 v3, 0x2000, v3
	s_andn2_b64 exec, exec, s[0:1]
	s_cbranch_execnz .LBB61_1
; %bb.2:
	s_or_b64 exec, exec, s[0:1]
	s_load_dword s28, s[4:5], 0x68
	s_waitcnt lgkmcnt(0)
	s_barrier
	s_load_dwordx2 s[0:1], s[38:39], 0x0
	s_load_dwordx4 s[44:47], s[4:5], 0x58
	s_bitcmp1_b32 s28, 0
	s_cselect_b64 s[2:3], -1, 0
	s_mov_b32 s7, 0
	s_waitcnt lgkmcnt(0)
	s_lshl_b64 s[0:1], s[0:1], 3
	s_add_u32 s4, s40, s0
	s_addc_u32 s5, s41, s1
	s_lshl_b64 s[0:1], s[6:7], 3
	s_add_u32 s0, s4, s0
	s_addc_u32 s1, s5, s1
	s_load_dwordx2 s[38:39], s[0:1], 0x0
	v_lshrrev_b32_e32 v13, 6, v0
	s_and_b64 vcc, exec, s[2:3]
	s_cbranch_vccz .LBB61_18
; %bb.3:
	s_waitcnt lgkmcnt(0)
	s_lshl_b64 s[0:1], s[38:39], 3
	s_add_u32 s0, s42, s0
	s_addc_u32 s1, s43, s1
	s_load_dwordx4 s[4:7], s[0:1], 0x0
	v_subrev_co_u32_e32 v1, vcc, s44, v13
	v_subb_co_u32_e64 v2, s[0:1], 0, 0, vcc
	s_waitcnt lgkmcnt(0)
	s_sub_u32 s0, s6, s44
	v_mov_b32_e32 v3, s5
	v_add_co_u32_e32 v1, vcc, s4, v1
	s_subb_u32 s1, s7, 0
	v_addc_co_u32_e32 v2, vcc, v3, v2, vcc
	v_cmp_gt_i64_e32 vcc, s[0:1], v[1:2]
	s_and_saveexec_b64 s[2:3], vcc
	s_cbranch_execz .LBB61_17
; %bb.4:
	v_and_b32_e32 v3, 63, v0
	v_subrev_co_u32_e32 v14, vcc, s45, v3
	v_subb_co_u32_e64 v15, s[4:5], 0, 0, vcc
	s_mov_b32 s29, s45
	s_mov_b64 s[4:5], 0
	v_mov_b32_e32 v16, s9
	v_mov_b32_e32 v17, s11
	s_movk_i32 s9, 0x89
	s_branch .LBB61_6
.LBB61_5:                               ;   in Loop: Header=BB61_6 Depth=1
	s_or_b64 exec, exec, s[6:7]
	v_add_co_u32_e32 v1, vcc, 16, v1
	v_addc_co_u32_e32 v2, vcc, 0, v2, vcc
	v_cmp_le_i64_e32 vcc, s[0:1], v[1:2]
	s_or_b64 s[4:5], vcc, s[4:5]
	s_andn2_b64 exec, exec, s[4:5]
	s_cbranch_execz .LBB61_17
.LBB61_6:                               ; =>This Loop Header: Depth=1
                                        ;     Child Loop BB61_9 Depth 2
                                        ;       Child Loop BB61_12 Depth 3
	v_lshlrev_b64 v[3:4], 3, v[1:2]
	v_add_co_u32_e32 v3, vcc, s8, v3
	v_addc_co_u32_e32 v4, vcc, v16, v4, vcc
	global_load_dwordx2 v[3:4], v[3:4], off
	s_waitcnt vmcnt(0)
	v_subrev_co_u32_e32 v3, vcc, s44, v3
	v_subbrev_co_u32_e32 v4, vcc, 0, v4, vcc
	v_lshlrev_b64 v[3:4], 3, v[3:4]
	v_add_co_u32_e32 v3, vcc, s10, v3
	v_addc_co_u32_e32 v4, vcc, v17, v4, vcc
	global_load_dwordx4 v[5:8], v[3:4], off
	s_waitcnt vmcnt(0)
	v_subrev_co_u32_e32 v3, vcc, s29, v7
	v_subbrev_co_u32_e32 v4, vcc, 0, v8, vcc
	v_add_co_u32_e32 v5, vcc, v5, v14
	v_addc_co_u32_e32 v6, vcc, v6, v15, vcc
	v_cmp_lt_i64_e32 vcc, v[5:6], v[3:4]
	s_and_saveexec_b64 s[6:7], vcc
	s_cbranch_execz .LBB61_5
; %bb.7:                                ;   in Loop: Header=BB61_6 Depth=1
	s_mov_b64 s[16:17], 0
	s_branch .LBB61_9
.LBB61_8:                               ;   in Loop: Header=BB61_9 Depth=2
	s_or_b64 exec, exec, s[18:19]
	v_add_co_u32_e32 v5, vcc, 64, v5
	v_addc_co_u32_e32 v6, vcc, 0, v6, vcc
	v_cmp_ge_i64_e32 vcc, v[5:6], v[3:4]
	s_or_b64 s[16:17], vcc, s[16:17]
	s_andn2_b64 exec, exec, s[16:17]
	s_cbranch_execz .LBB61_5
.LBB61_9:                               ;   Parent Loop BB61_6 Depth=1
                                        ; =>  This Loop Header: Depth=2
                                        ;       Child Loop BB61_12 Depth 3
	v_lshlrev_b64 v[7:8], 3, v[5:6]
	v_mov_b32_e32 v9, s13
	v_add_co_u32_e32 v7, vcc, s12, v7
	v_addc_co_u32_e32 v8, vcc, v9, v8, vcc
	global_load_dwordx2 v[7:8], v[7:8], off
	s_mov_b64 s[18:19], 0
                                        ; implicit-def: $sgpr20_sgpr21
	s_waitcnt vmcnt(0)
	v_subrev_co_u32_e32 v7, vcc, s29, v7
	v_mul_lo_u32 v9, v7, s9
	v_subbrev_co_u32_e32 v8, vcc, 0, v8, vcc
	v_and_b32_e32 v18, 0xfff, v9
	s_branch .LBB61_12
.LBB61_10:                              ;   in Loop: Header=BB61_12 Depth=3
	s_or_b64 exec, exec, s[24:25]
	s_andn2_b64 s[20:21], s[20:21], exec
	s_and_b64 s[24:25], s[26:27], exec
	s_or_b64 s[20:21], s[20:21], s[24:25]
.LBB61_11:                              ;   in Loop: Header=BB61_12 Depth=3
	s_or_b64 exec, exec, s[22:23]
	s_xor_b64 s[22:23], s[20:21], -1
	s_and_b64 s[22:23], exec, s[22:23]
	s_or_b64 s[18:19], s[22:23], s[18:19]
	s_andn2_b64 exec, exec, s[18:19]
	s_cbranch_execz .LBB61_8
.LBB61_12:                              ;   Parent Loop BB61_6 Depth=1
                                        ;     Parent Loop BB61_9 Depth=2
                                        ; =>    This Inner Loop Header: Depth=3
	v_lshl_add_u32 v19, v18, 3, 0
	ds_read_b64 v[9:10], v19
	s_andn2_b64 s[20:21], s[20:21], exec
	s_waitcnt lgkmcnt(0)
	v_cmp_ne_u64_e32 vcc, v[9:10], v[7:8]
	s_and_saveexec_b64 s[22:23], vcc
	s_cbranch_execz .LBB61_11
; %bb.13:                               ;   in Loop: Header=BB61_12 Depth=3
	v_cmp_ne_u64_e32 vcc, s[36:37], v[9:10]
	s_and_saveexec_b64 s[24:25], vcc
	s_xor_b64 s[24:25], exec, s[24:25]
; %bb.14:                               ;   in Loop: Header=BB61_12 Depth=3
	v_add_u32_e32 v9, 1, v18
	v_and_b32_e32 v18, 0xfff, v9
                                        ; implicit-def: $vgpr19
; %bb.15:                               ;   in Loop: Header=BB61_12 Depth=3
	s_or_saveexec_b64 s[24:25], s[24:25]
	s_mov_b64 s[26:27], -1
	s_xor_b64 exec, exec, s[24:25]
	s_cbranch_execz .LBB61_10
; %bb.16:                               ;   in Loop: Header=BB61_12 Depth=3
	v_mov_b32_e32 v9, s36
	v_mov_b32_e32 v10, s37
	ds_cmpst_rtn_b64 v[9:10], v19, v[9:10], v[7:8]
	s_waitcnt lgkmcnt(0)
	v_cmp_ne_u64_e32 vcc, s[36:37], v[9:10]
	s_orn2_b64 s[26:27], vcc, exec
	s_branch .LBB61_10
.LBB61_17:
	s_or_b64 exec, exec, s[2:3]
.LBB61_18:
	s_bfe_u32 s0, s28, 0x10008
	s_cmp_eq_u32 s0, 0
	s_cbranch_scc1 .LBB61_31
; %bb.19:
	s_waitcnt lgkmcnt(0)
	s_lshl_b64 s[0:1], s[38:39], 3
	s_add_u32 s0, s14, s0
	s_addc_u32 s1, s15, s1
	s_load_dwordx4 s[4:7], s[0:1], 0x0
	v_subrev_co_u32_e32 v1, vcc, s47, v0
	v_subb_co_u32_e64 v2, s[0:1], 0, 0, vcc
	s_waitcnt lgkmcnt(0)
	s_sub_u32 s0, s6, s47
	v_mov_b32_e32 v3, s5
	v_add_co_u32_e32 v1, vcc, s4, v1
	s_subb_u32 s1, s7, 0
	v_addc_co_u32_e32 v2, vcc, v3, v2, vcc
	v_cmp_gt_i64_e32 vcc, s[0:1], v[1:2]
	s_and_saveexec_b64 s[2:3], vcc
	s_cbranch_execz .LBB61_30
; %bb.20:
	s_mov_b32 s16, s47
	s_mov_b64 s[4:5], 0
	v_mov_b32_e32 v7, s49
	s_movk_i32 s17, 0x89
	s_branch .LBB61_22
.LBB61_21:                              ;   in Loop: Header=BB61_22 Depth=1
	s_or_b64 exec, exec, s[6:7]
	v_add_co_u32_e32 v1, vcc, 0x400, v1
	v_addc_co_u32_e32 v2, vcc, 0, v2, vcc
	v_cmp_le_i64_e32 vcc, s[0:1], v[1:2]
	s_or_b64 s[4:5], vcc, s[4:5]
	s_andn2_b64 exec, exec, s[4:5]
	s_cbranch_execz .LBB61_30
.LBB61_22:                              ; =>This Loop Header: Depth=1
                                        ;     Child Loop BB61_25 Depth 2
	v_lshlrev_b64 v[3:4], 3, v[1:2]
	s_mov_b64 s[6:7], 0
	v_add_co_u32_e32 v3, vcc, s48, v3
	v_addc_co_u32_e32 v4, vcc, v7, v4, vcc
	global_load_dwordx2 v[3:4], v[3:4], off
                                        ; implicit-def: $sgpr8_sgpr9
	s_waitcnt vmcnt(0)
	v_subrev_co_u32_e32 v3, vcc, s16, v3
	v_mul_lo_u32 v5, v3, s17
	v_subbrev_co_u32_e32 v4, vcc, 0, v4, vcc
	v_and_b32_e32 v8, 0xfff, v5
	s_branch .LBB61_25
.LBB61_23:                              ;   in Loop: Header=BB61_25 Depth=2
	s_or_b64 exec, exec, s[12:13]
	s_andn2_b64 s[8:9], s[8:9], exec
	s_and_b64 s[12:13], s[14:15], exec
	s_or_b64 s[8:9], s[8:9], s[12:13]
.LBB61_24:                              ;   in Loop: Header=BB61_25 Depth=2
	s_or_b64 exec, exec, s[10:11]
	s_xor_b64 s[10:11], s[8:9], -1
	s_and_b64 s[10:11], exec, s[10:11]
	s_or_b64 s[6:7], s[10:11], s[6:7]
	s_andn2_b64 exec, exec, s[6:7]
	s_cbranch_execz .LBB61_21
.LBB61_25:                              ;   Parent Loop BB61_22 Depth=1
                                        ; =>  This Inner Loop Header: Depth=2
	v_lshl_add_u32 v9, v8, 3, 0
	ds_read_b64 v[5:6], v9
	s_andn2_b64 s[8:9], s[8:9], exec
	s_waitcnt lgkmcnt(0)
	v_cmp_ne_u64_e32 vcc, v[5:6], v[3:4]
	s_and_saveexec_b64 s[10:11], vcc
	s_cbranch_execz .LBB61_24
; %bb.26:                               ;   in Loop: Header=BB61_25 Depth=2
	v_cmp_ne_u64_e32 vcc, s[36:37], v[5:6]
	s_and_saveexec_b64 s[12:13], vcc
	s_xor_b64 s[12:13], exec, s[12:13]
; %bb.27:                               ;   in Loop: Header=BB61_25 Depth=2
	v_add_u32_e32 v5, 1, v8
	v_and_b32_e32 v8, 0xfff, v5
                                        ; implicit-def: $vgpr9
; %bb.28:                               ;   in Loop: Header=BB61_25 Depth=2
	s_or_saveexec_b64 s[12:13], s[12:13]
	s_mov_b64 s[14:15], -1
	s_xor_b64 exec, exec, s[12:13]
	s_cbranch_execz .LBB61_23
; %bb.29:                               ;   in Loop: Header=BB61_25 Depth=2
	v_mov_b32_e32 v5, s36
	v_mov_b32_e32 v6, s37
	ds_cmpst_rtn_b64 v[5:6], v9, v[5:6], v[3:4]
	s_waitcnt lgkmcnt(0)
	v_cmp_ne_u64_e32 vcc, s[36:37], v[5:6]
	s_orn2_b64 s[14:15], vcc, exec
	s_branch .LBB61_23
.LBB61_30:
	s_or_b64 exec, exec, s[2:3]
.LBB61_31:
	v_mbcnt_lo_u32_b32 v1, -1, 0
	v_mbcnt_hi_u32_b32 v1, -1, v1
	v_sub_u32_e32 v1, 63, v1
	v_lshrrev_b64 v[3:4], v1, -1
	s_movk_i32 s0, 0x3ff
	s_movk_i32 s2, 0x7f
	;; [unrolled: 1-line block ×15, first 2 shown]
	v_mov_b32_e32 v5, 0
	v_mov_b32_e32 v2, 0
	v_lshl_add_u32 v13, v13, 3, 0
	v_cmp_eq_u32_e32 vcc, s0, v0
	v_cmp_lt_u32_e64 s[0:1], 63, v0
	v_cmp_lt_u32_e64 s[2:3], s2, v0
	;; [unrolled: 1-line block ×15, first 2 shown]
	s_mov_b64 s[40:41], 0
	v_mov_b32_e32 v6, 0
	s_movk_i32 s33, 0xbff
	s_waitcnt lgkmcnt(0)
	s_barrier
	s_branch .LBB61_33
.LBB61_32:                              ;   in Loop: Header=BB61_33 Depth=1
	s_or_b64 exec, exec, s[30:31]
	s_waitcnt lgkmcnt(0)
	s_barrier
	ds_read_b64 v[7:8], v2 offset:32888
	v_add_u32_e32 v11, 0x400, v11
	v_add_u32_e32 v12, 0x2000, v12
	s_waitcnt lgkmcnt(0)
	v_add_co_u32_e64 v5, s[30:31], v7, v5
	v_addc_co_u32_e64 v6, s[30:31], v8, v6, s[30:31]
	v_cmp_lt_u32_e64 s[30:31], s33, v11
	s_or_b64 s[40:41], s[30:31], s[40:41]
	s_andn2_b64 exec, exec, s[40:41]
	s_cbranch_execz .LBB61_67
.LBB61_33:                              ; =>This Inner Loop Header: Depth=1
	ds_read_b64 v[7:8], v12
	s_waitcnt lgkmcnt(0)
	s_barrier
	v_cmp_gt_i64_e64 s[30:31], s[36:37], v[7:8]
	v_and_b32_e32 v10, s30, v3
	s_bcnt1_i32_b64 s42, s[30:31]
	v_and_b32_e32 v9, s31, v4
	v_bcnt_u32_b32 v10, v10, 0
	v_mov_b32_e32 v1, s42
	v_bcnt_u32_b32 v9, v9, v10
	ds_write_b64 v13, v[1:2] offset:32768
	s_waitcnt lgkmcnt(0)
	s_barrier
	s_and_saveexec_b64 s[42:43], s[0:1]
	s_cbranch_execnz .LBB61_50
; %bb.34:                               ;   in Loop: Header=BB61_33 Depth=1
	s_or_b64 exec, exec, s[42:43]
	s_and_saveexec_b64 s[42:43], s[2:3]
	s_cbranch_execnz .LBB61_51
.LBB61_35:                              ;   in Loop: Header=BB61_33 Depth=1
	s_or_b64 exec, exec, s[42:43]
	s_and_saveexec_b64 s[42:43], s[4:5]
	s_cbranch_execnz .LBB61_52
.LBB61_36:                              ;   in Loop: Header=BB61_33 Depth=1
	s_or_b64 exec, exec, s[42:43]
	s_and_saveexec_b64 s[42:43], s[6:7]
	s_cbranch_execnz .LBB61_53
.LBB61_37:                              ;   in Loop: Header=BB61_33 Depth=1
	s_or_b64 exec, exec, s[42:43]
	s_and_saveexec_b64 s[42:43], s[8:9]
	s_cbranch_execnz .LBB61_54
.LBB61_38:                              ;   in Loop: Header=BB61_33 Depth=1
	s_or_b64 exec, exec, s[42:43]
	s_and_saveexec_b64 s[42:43], s[10:11]
	s_cbranch_execnz .LBB61_55
.LBB61_39:                              ;   in Loop: Header=BB61_33 Depth=1
	s_or_b64 exec, exec, s[42:43]
	s_and_saveexec_b64 s[42:43], s[12:13]
	s_cbranch_execnz .LBB61_56
.LBB61_40:                              ;   in Loop: Header=BB61_33 Depth=1
	s_or_b64 exec, exec, s[42:43]
	s_and_saveexec_b64 s[42:43], s[14:15]
	s_cbranch_execnz .LBB61_57
.LBB61_41:                              ;   in Loop: Header=BB61_33 Depth=1
	s_or_b64 exec, exec, s[42:43]
	s_and_saveexec_b64 s[42:43], s[16:17]
	s_cbranch_execnz .LBB61_58
.LBB61_42:                              ;   in Loop: Header=BB61_33 Depth=1
	s_or_b64 exec, exec, s[42:43]
	s_and_saveexec_b64 s[42:43], s[18:19]
	s_cbranch_execnz .LBB61_59
.LBB61_43:                              ;   in Loop: Header=BB61_33 Depth=1
	s_or_b64 exec, exec, s[42:43]
	s_and_saveexec_b64 s[42:43], s[20:21]
	s_cbranch_execnz .LBB61_60
.LBB61_44:                              ;   in Loop: Header=BB61_33 Depth=1
	s_or_b64 exec, exec, s[42:43]
	s_and_saveexec_b64 s[42:43], s[22:23]
	s_cbranch_execnz .LBB61_61
.LBB61_45:                              ;   in Loop: Header=BB61_33 Depth=1
	s_or_b64 exec, exec, s[42:43]
	s_and_saveexec_b64 s[42:43], s[24:25]
	s_cbranch_execnz .LBB61_62
.LBB61_46:                              ;   in Loop: Header=BB61_33 Depth=1
	s_or_b64 exec, exec, s[42:43]
	s_and_saveexec_b64 s[42:43], s[26:27]
	s_cbranch_execnz .LBB61_63
.LBB61_47:                              ;   in Loop: Header=BB61_33 Depth=1
	s_or_b64 exec, exec, s[42:43]
	s_and_saveexec_b64 s[42:43], s[28:29]
	s_cbranch_execnz .LBB61_64
.LBB61_48:                              ;   in Loop: Header=BB61_33 Depth=1
	s_or_b64 exec, exec, s[42:43]
	v_ashrrev_i32_e32 v10, 31, v9
	s_and_saveexec_b64 s[42:43], s[30:31]
	s_cbranch_execnz .LBB61_65
.LBB61_49:                              ;   in Loop: Header=BB61_33 Depth=1
	s_or_b64 exec, exec, s[42:43]
	s_and_saveexec_b64 s[30:31], vcc
	s_cbranch_execz .LBB61_32
	s_branch .LBB61_66
.LBB61_50:                              ;   in Loop: Header=BB61_33 Depth=1
	ds_read_b32 v1, v2 offset:32768
	s_waitcnt lgkmcnt(0)
	v_add_u32_e32 v9, v1, v9
	s_or_b64 exec, exec, s[42:43]
	s_and_saveexec_b64 s[42:43], s[2:3]
	s_cbranch_execz .LBB61_35
.LBB61_51:                              ;   in Loop: Header=BB61_33 Depth=1
	ds_read_b32 v1, v2 offset:32776
	s_waitcnt lgkmcnt(0)
	v_add_u32_e32 v9, v9, v1
	s_or_b64 exec, exec, s[42:43]
	s_and_saveexec_b64 s[42:43], s[4:5]
	s_cbranch_execz .LBB61_36
.LBB61_52:                              ;   in Loop: Header=BB61_33 Depth=1
	ds_read_b32 v1, v2 offset:32784
	s_waitcnt lgkmcnt(0)
	v_add_u32_e32 v9, v9, v1
	s_or_b64 exec, exec, s[42:43]
	s_and_saveexec_b64 s[42:43], s[6:7]
	s_cbranch_execz .LBB61_37
.LBB61_53:                              ;   in Loop: Header=BB61_33 Depth=1
	ds_read_b32 v1, v2 offset:32792
	s_waitcnt lgkmcnt(0)
	v_add_u32_e32 v9, v9, v1
	s_or_b64 exec, exec, s[42:43]
	s_and_saveexec_b64 s[42:43], s[8:9]
	s_cbranch_execz .LBB61_38
.LBB61_54:                              ;   in Loop: Header=BB61_33 Depth=1
	ds_read_b32 v1, v2 offset:32800
	s_waitcnt lgkmcnt(0)
	v_add_u32_e32 v9, v9, v1
	s_or_b64 exec, exec, s[42:43]
	s_and_saveexec_b64 s[42:43], s[10:11]
	s_cbranch_execz .LBB61_39
.LBB61_55:                              ;   in Loop: Header=BB61_33 Depth=1
	ds_read_b32 v1, v2 offset:32808
	s_waitcnt lgkmcnt(0)
	v_add_u32_e32 v9, v9, v1
	s_or_b64 exec, exec, s[42:43]
	s_and_saveexec_b64 s[42:43], s[12:13]
	s_cbranch_execz .LBB61_40
.LBB61_56:                              ;   in Loop: Header=BB61_33 Depth=1
	ds_read_b32 v1, v2 offset:32816
	s_waitcnt lgkmcnt(0)
	v_add_u32_e32 v9, v9, v1
	s_or_b64 exec, exec, s[42:43]
	s_and_saveexec_b64 s[42:43], s[14:15]
	s_cbranch_execz .LBB61_41
.LBB61_57:                              ;   in Loop: Header=BB61_33 Depth=1
	ds_read_b32 v1, v2 offset:32824
	s_waitcnt lgkmcnt(0)
	v_add_u32_e32 v9, v9, v1
	s_or_b64 exec, exec, s[42:43]
	s_and_saveexec_b64 s[42:43], s[16:17]
	s_cbranch_execz .LBB61_42
.LBB61_58:                              ;   in Loop: Header=BB61_33 Depth=1
	ds_read_b32 v1, v2 offset:32832
	s_waitcnt lgkmcnt(0)
	v_add_u32_e32 v9, v9, v1
	s_or_b64 exec, exec, s[42:43]
	s_and_saveexec_b64 s[42:43], s[18:19]
	s_cbranch_execz .LBB61_43
.LBB61_59:                              ;   in Loop: Header=BB61_33 Depth=1
	ds_read_b32 v1, v2 offset:32840
	s_waitcnt lgkmcnt(0)
	v_add_u32_e32 v9, v9, v1
	s_or_b64 exec, exec, s[42:43]
	s_and_saveexec_b64 s[42:43], s[20:21]
	s_cbranch_execz .LBB61_44
.LBB61_60:                              ;   in Loop: Header=BB61_33 Depth=1
	ds_read_b32 v1, v2 offset:32848
	s_waitcnt lgkmcnt(0)
	v_add_u32_e32 v9, v9, v1
	s_or_b64 exec, exec, s[42:43]
	s_and_saveexec_b64 s[42:43], s[22:23]
	s_cbranch_execz .LBB61_45
.LBB61_61:                              ;   in Loop: Header=BB61_33 Depth=1
	ds_read_b32 v1, v2 offset:32856
	s_waitcnt lgkmcnt(0)
	v_add_u32_e32 v9, v9, v1
	s_or_b64 exec, exec, s[42:43]
	s_and_saveexec_b64 s[42:43], s[24:25]
	s_cbranch_execz .LBB61_46
.LBB61_62:                              ;   in Loop: Header=BB61_33 Depth=1
	ds_read_b32 v1, v2 offset:32864
	s_waitcnt lgkmcnt(0)
	v_add_u32_e32 v9, v9, v1
	s_or_b64 exec, exec, s[42:43]
	s_and_saveexec_b64 s[42:43], s[26:27]
	s_cbranch_execz .LBB61_47
.LBB61_63:                              ;   in Loop: Header=BB61_33 Depth=1
	ds_read_b32 v1, v2 offset:32872
	s_waitcnt lgkmcnt(0)
	v_add_u32_e32 v9, v9, v1
	s_or_b64 exec, exec, s[42:43]
	s_and_saveexec_b64 s[42:43], s[28:29]
	s_cbranch_execz .LBB61_48
.LBB61_64:                              ;   in Loop: Header=BB61_33 Depth=1
	ds_read_b32 v1, v2 offset:32880
	s_waitcnt lgkmcnt(0)
	v_add_u32_e32 v9, v9, v1
	s_or_b64 exec, exec, s[42:43]
	v_ashrrev_i32_e32 v10, 31, v9
	s_and_saveexec_b64 s[42:43], s[30:31]
	s_cbranch_execz .LBB61_49
.LBB61_65:                              ;   in Loop: Header=BB61_33 Depth=1
	v_lshlrev_b32_e32 v1, 3, v5
	v_add_u32_e32 v1, 0, v1
	v_lshlrev_b32_e32 v14, 3, v9
	v_add3_u32 v1, v1, v14, -8
	ds_write_b64 v1, v[7:8]
	s_or_b64 exec, exec, s[42:43]
	s_and_saveexec_b64 s[30:31], vcc
	s_cbranch_execz .LBB61_32
.LBB61_66:                              ;   in Loop: Header=BB61_33 Depth=1
	ds_write_b64 v2, v[9:10] offset:32888
	s_branch .LBB61_32
.LBB61_67:
	s_or_b64 exec, exec, s[40:41]
	s_lshl_b64 s[0:1], s[38:39], 3
	s_add_u32 s4, s50, s0
	s_addc_u32 s5, s51, s1
	s_load_dwordx4 s[0:3], s[4:5], 0x0
	v_mov_b32_e32 v1, 0
	s_waitcnt lgkmcnt(0)
	s_sub_u32 s4, s2, s0
	s_subb_u32 s5, s3, s1
	v_cmp_gt_i64_e32 vcc, s[4:5], v[0:1]
	s_and_saveexec_b64 s[6:7], vcc
	s_cbranch_execz .LBB61_77
; %bb.68:
	s_sub_u32 s8, s0, s46
	s_subb_u32 s9, s1, 0
	s_and_b32 s6, s4, 7
	s_sub_u32 s0, s0, s2
	s_subb_u32 s1, s1, s3
	v_cmp_lt_u64_e64 s[0:1], s[0:1], -7
	s_mov_b32 s7, 0
	s_and_b32 s10, s4, -8
	s_cmp_lg_u64 s[6:7], 0
	v_cndmask_b32_e64 v2, 0, 1, s[0:1]
	s_mov_b32 s11, s5
	s_mov_b64 s[12:13], 0
	s_cselect_b64 s[14:15], -1, 0
	v_cmp_ne_u32_e64 s[0:1], 1, v2
	s_branch .LBB61_70
.LBB61_69:                              ;   in Loop: Header=BB61_70 Depth=1
	s_waitcnt lgkmcnt(0)
	v_add_co_u32_e32 v2, vcc, s46, v2
	v_addc_co_u32_e32 v3, vcc, 0, v3, vcc
	v_add_co_u32_e32 v0, vcc, 0x400, v0
	v_lshlrev_b64 v[4:5], 3, v[4:5]
	v_addc_co_u32_e32 v1, vcc, 0, v1, vcc
	v_cmp_le_i64_e32 vcc, s[4:5], v[0:1]
	v_mov_b32_e32 v6, s35
	v_add_co_u32_e64 v4, s[2:3], s34, v4
	v_addc_co_u32_e64 v5, s[2:3], v6, v5, s[2:3]
	s_or_b64 s[12:13], vcc, s[12:13]
	global_store_dwordx2 v[4:5], v[2:3], off
	s_andn2_b64 exec, exec, s[12:13]
	s_cbranch_execz .LBB61_77
.LBB61_70:                              ; =>This Loop Header: Depth=1
                                        ;     Child Loop BB61_72 Depth 2
                                        ;     Child Loop BB61_76 Depth 2
	v_lshl_add_u32 v2, v0, 3, 0
	ds_read_b64 v[2:3], v2
	v_mov_b32_e32 v4, s8
	s_and_b64 vcc, exec, s[0:1]
	v_mov_b32_e32 v5, s9
	s_mov_b64 s[2:3], 0
	s_cbranch_vccnz .LBB61_74
; %bb.71:                               ;   in Loop: Header=BB61_70 Depth=1
	v_mov_b32_e32 v4, s8
	s_mov_b64 s[16:17], 0
	s_mov_b32 s18, 0
	v_mov_b32_e32 v5, s9
.LBB61_72:                              ;   Parent Loop BB61_70 Depth=1
                                        ; =>  This Inner Loop Header: Depth=2
	v_mov_b32_e32 v18, s18
	ds_read2_b64 v[6:9], v18 offset1:1
	ds_read2_b64 v[10:13], v18 offset0:2 offset1:3
	ds_read2_b64 v[14:17], v18 offset0:4 offset1:5
	;; [unrolled: 1-line block ×3, first 2 shown]
	s_add_u32 s16, s16, 8
	s_waitcnt lgkmcnt(3)
	v_cmp_gt_i64_e32 vcc, v[2:3], v[8:9]
	v_cmp_gt_i64_e64 s[2:3], v[2:3], v[6:7]
	v_cndmask_b32_e64 v7, 0, 1, vcc
	s_waitcnt lgkmcnt(2)
	v_cmp_gt_i64_e32 vcc, v[2:3], v[10:11]
	v_cndmask_b32_e64 v6, 0, 1, s[2:3]
	v_cndmask_b32_e64 v8, 0, 1, vcc
	v_cmp_gt_i64_e32 vcc, v[2:3], v[12:13]
	s_addc_u32 s17, s17, 0
	v_cndmask_b32_e64 v9, 0, 1, vcc
	s_waitcnt lgkmcnt(1)
	v_cmp_gt_i64_e32 vcc, v[2:3], v[14:15]
	s_add_i32 s18, s18, 64
	v_cndmask_b32_e64 v10, 0, 1, vcc
	v_cmp_gt_i64_e32 vcc, v[2:3], v[16:17]
	s_cmp_eq_u64 s[10:11], s[16:17]
	v_cndmask_b32_e64 v11, 0, 1, vcc
	s_waitcnt lgkmcnt(0)
	v_cmp_gt_i64_e32 vcc, v[2:3], v[18:19]
	v_cndmask_b32_e64 v12, 0, 1, vcc
	v_cmp_gt_i64_e32 vcc, v[2:3], v[20:21]
	v_cndmask_b32_e64 v13, 0, 1, vcc
	v_add_co_u32_e32 v4, vcc, v4, v6
	v_addc_co_u32_e32 v5, vcc, 0, v5, vcc
	v_add_co_u32_e32 v4, vcc, v4, v7
	v_addc_co_u32_e32 v5, vcc, 0, v5, vcc
	;; [unrolled: 2-line block ×8, first 2 shown]
	s_cbranch_scc0 .LBB61_72
; %bb.73:                               ;   in Loop: Header=BB61_70 Depth=1
	s_mov_b64 s[2:3], s[10:11]
.LBB61_74:                              ;   in Loop: Header=BB61_70 Depth=1
	s_andn2_b64 vcc, exec, s[14:15]
	s_cbranch_vccnz .LBB61_69
; %bb.75:                               ;   in Loop: Header=BB61_70 Depth=1
	s_lshl_b32 s2, s2, 3
	s_add_i32 s16, s2, 0
	s_mov_b64 s[2:3], s[6:7]
.LBB61_76:                              ;   Parent Loop BB61_70 Depth=1
                                        ; =>  This Inner Loop Header: Depth=2
	v_mov_b32_e32 v6, s16
	ds_read_b64 v[6:7], v6
	s_add_i32 s16, s16, 8
	s_add_u32 s2, s2, -1
	s_addc_u32 s3, s3, -1
	s_cmp_lg_u64 s[2:3], 0
	s_waitcnt lgkmcnt(0)
	v_cmp_gt_i64_e32 vcc, v[2:3], v[6:7]
	v_cndmask_b32_e64 v6, 0, 1, vcc
	v_add_co_u32_e32 v4, vcc, v4, v6
	v_addc_co_u32_e32 v5, vcc, 0, v5, vcc
	s_cbranch_scc1 .LBB61_76
	s_branch .LBB61_69
.LBB61_77:
	s_endpgm
	.section	.rodata,"a",@progbits
	.p2align	6, 0x0
	.amdhsa_kernel _ZN9rocsparseL35csrgemm_symbolic_fill_block_per_rowILj1024ELj64ELj4096ELj137ELj64EllEEvT5_PKS1_S3_PKT4_S3_S6_S3_S6_S3_S6_PS1_21rocsparse_index_base_S8_S8_S8_bb
		.amdhsa_group_segment_fixed_size 0
		.amdhsa_private_segment_fixed_size 0
		.amdhsa_kernarg_size 108
		.amdhsa_user_sgpr_count 6
		.amdhsa_user_sgpr_private_segment_buffer 1
		.amdhsa_user_sgpr_dispatch_ptr 0
		.amdhsa_user_sgpr_queue_ptr 0
		.amdhsa_user_sgpr_kernarg_segment_ptr 1
		.amdhsa_user_sgpr_dispatch_id 0
		.amdhsa_user_sgpr_flat_scratch_init 0
		.amdhsa_user_sgpr_private_segment_size 0
		.amdhsa_uses_dynamic_stack 0
		.amdhsa_system_sgpr_private_segment_wavefront_offset 0
		.amdhsa_system_sgpr_workgroup_id_x 1
		.amdhsa_system_sgpr_workgroup_id_y 0
		.amdhsa_system_sgpr_workgroup_id_z 0
		.amdhsa_system_sgpr_workgroup_info 0
		.amdhsa_system_vgpr_workitem_id 0
		.amdhsa_next_free_vgpr 22
		.amdhsa_next_free_sgpr 52
		.amdhsa_reserve_vcc 1
		.amdhsa_reserve_flat_scratch 0
		.amdhsa_float_round_mode_32 0
		.amdhsa_float_round_mode_16_64 0
		.amdhsa_float_denorm_mode_32 3
		.amdhsa_float_denorm_mode_16_64 3
		.amdhsa_dx10_clamp 1
		.amdhsa_ieee_mode 1
		.amdhsa_fp16_overflow 0
		.amdhsa_exception_fp_ieee_invalid_op 0
		.amdhsa_exception_fp_denorm_src 0
		.amdhsa_exception_fp_ieee_div_zero 0
		.amdhsa_exception_fp_ieee_overflow 0
		.amdhsa_exception_fp_ieee_underflow 0
		.amdhsa_exception_fp_ieee_inexact 0
		.amdhsa_exception_int_div_zero 0
	.end_amdhsa_kernel
	.section	.text._ZN9rocsparseL35csrgemm_symbolic_fill_block_per_rowILj1024ELj64ELj4096ELj137ELj64EllEEvT5_PKS1_S3_PKT4_S3_S6_S3_S6_S3_S6_PS1_21rocsparse_index_base_S8_S8_S8_bb,"axG",@progbits,_ZN9rocsparseL35csrgemm_symbolic_fill_block_per_rowILj1024ELj64ELj4096ELj137ELj64EllEEvT5_PKS1_S3_PKT4_S3_S6_S3_S6_S3_S6_PS1_21rocsparse_index_base_S8_S8_S8_bb,comdat
.Lfunc_end61:
	.size	_ZN9rocsparseL35csrgemm_symbolic_fill_block_per_rowILj1024ELj64ELj4096ELj137ELj64EllEEvT5_PKS1_S3_PKT4_S3_S6_S3_S6_S3_S6_PS1_21rocsparse_index_base_S8_S8_S8_bb, .Lfunc_end61-_ZN9rocsparseL35csrgemm_symbolic_fill_block_per_rowILj1024ELj64ELj4096ELj137ELj64EllEEvT5_PKS1_S3_PKT4_S3_S6_S3_S6_S3_S6_PS1_21rocsparse_index_base_S8_S8_S8_bb
                                        ; -- End function
	.set _ZN9rocsparseL35csrgemm_symbolic_fill_block_per_rowILj1024ELj64ELj4096ELj137ELj64EllEEvT5_PKS1_S3_PKT4_S3_S6_S3_S6_S3_S6_PS1_21rocsparse_index_base_S8_S8_S8_bb.num_vgpr, 22
	.set _ZN9rocsparseL35csrgemm_symbolic_fill_block_per_rowILj1024ELj64ELj4096ELj137ELj64EllEEvT5_PKS1_S3_PKT4_S3_S6_S3_S6_S3_S6_PS1_21rocsparse_index_base_S8_S8_S8_bb.num_agpr, 0
	.set _ZN9rocsparseL35csrgemm_symbolic_fill_block_per_rowILj1024ELj64ELj4096ELj137ELj64EllEEvT5_PKS1_S3_PKT4_S3_S6_S3_S6_S3_S6_PS1_21rocsparse_index_base_S8_S8_S8_bb.numbered_sgpr, 52
	.set _ZN9rocsparseL35csrgemm_symbolic_fill_block_per_rowILj1024ELj64ELj4096ELj137ELj64EllEEvT5_PKS1_S3_PKT4_S3_S6_S3_S6_S3_S6_PS1_21rocsparse_index_base_S8_S8_S8_bb.num_named_barrier, 0
	.set _ZN9rocsparseL35csrgemm_symbolic_fill_block_per_rowILj1024ELj64ELj4096ELj137ELj64EllEEvT5_PKS1_S3_PKT4_S3_S6_S3_S6_S3_S6_PS1_21rocsparse_index_base_S8_S8_S8_bb.private_seg_size, 0
	.set _ZN9rocsparseL35csrgemm_symbolic_fill_block_per_rowILj1024ELj64ELj4096ELj137ELj64EllEEvT5_PKS1_S3_PKT4_S3_S6_S3_S6_S3_S6_PS1_21rocsparse_index_base_S8_S8_S8_bb.uses_vcc, 1
	.set _ZN9rocsparseL35csrgemm_symbolic_fill_block_per_rowILj1024ELj64ELj4096ELj137ELj64EllEEvT5_PKS1_S3_PKT4_S3_S6_S3_S6_S3_S6_PS1_21rocsparse_index_base_S8_S8_S8_bb.uses_flat_scratch, 0
	.set _ZN9rocsparseL35csrgemm_symbolic_fill_block_per_rowILj1024ELj64ELj4096ELj137ELj64EllEEvT5_PKS1_S3_PKT4_S3_S6_S3_S6_S3_S6_PS1_21rocsparse_index_base_S8_S8_S8_bb.has_dyn_sized_stack, 0
	.set _ZN9rocsparseL35csrgemm_symbolic_fill_block_per_rowILj1024ELj64ELj4096ELj137ELj64EllEEvT5_PKS1_S3_PKT4_S3_S6_S3_S6_S3_S6_PS1_21rocsparse_index_base_S8_S8_S8_bb.has_recursion, 0
	.set _ZN9rocsparseL35csrgemm_symbolic_fill_block_per_rowILj1024ELj64ELj4096ELj137ELj64EllEEvT5_PKS1_S3_PKT4_S3_S6_S3_S6_S3_S6_PS1_21rocsparse_index_base_S8_S8_S8_bb.has_indirect_call, 0
	.section	.AMDGPU.csdata,"",@progbits
; Kernel info:
; codeLenInByte = 2708
; TotalNumSgprs: 56
; NumVgprs: 22
; ScratchSize: 0
; MemoryBound: 0
; FloatMode: 240
; IeeeMode: 1
; LDSByteSize: 0 bytes/workgroup (compile time only)
; SGPRBlocks: 6
; VGPRBlocks: 5
; NumSGPRsForWavesPerEU: 56
; NumVGPRsForWavesPerEU: 22
; Occupancy: 10
; WaveLimiterHint : 1
; COMPUTE_PGM_RSRC2:SCRATCH_EN: 0
; COMPUTE_PGM_RSRC2:USER_SGPR: 6
; COMPUTE_PGM_RSRC2:TRAP_HANDLER: 0
; COMPUTE_PGM_RSRC2:TGID_X_EN: 1
; COMPUTE_PGM_RSRC2:TGID_Y_EN: 0
; COMPUTE_PGM_RSRC2:TGID_Z_EN: 0
; COMPUTE_PGM_RSRC2:TIDIG_COMP_CNT: 0
	.section	.text._ZN9rocsparseL35csrgemm_symbolic_fill_block_per_rowILj1024ELj64ELj8192ELj137ELj32EllEEvT5_PKS1_S3_PKT4_S3_S6_S3_S6_S3_S6_PS1_21rocsparse_index_base_S8_S8_S8_bb,"axG",@progbits,_ZN9rocsparseL35csrgemm_symbolic_fill_block_per_rowILj1024ELj64ELj8192ELj137ELj32EllEEvT5_PKS1_S3_PKT4_S3_S6_S3_S6_S3_S6_PS1_21rocsparse_index_base_S8_S8_S8_bb,comdat
	.globl	_ZN9rocsparseL35csrgemm_symbolic_fill_block_per_rowILj1024ELj64ELj8192ELj137ELj32EllEEvT5_PKS1_S3_PKT4_S3_S6_S3_S6_S3_S6_PS1_21rocsparse_index_base_S8_S8_S8_bb ; -- Begin function _ZN9rocsparseL35csrgemm_symbolic_fill_block_per_rowILj1024ELj64ELj8192ELj137ELj32EllEEvT5_PKS1_S3_PKT4_S3_S6_S3_S6_S3_S6_PS1_21rocsparse_index_base_S8_S8_S8_bb
	.p2align	8
	.type	_ZN9rocsparseL35csrgemm_symbolic_fill_block_per_rowILj1024ELj64ELj8192ELj137ELj32EllEEvT5_PKS1_S3_PKT4_S3_S6_S3_S6_S3_S6_PS1_21rocsparse_index_base_S8_S8_S8_bb,@function
_ZN9rocsparseL35csrgemm_symbolic_fill_block_per_rowILj1024ELj64ELj8192ELj137ELj32EllEEvT5_PKS1_S3_PKT4_S3_S6_S3_S6_S3_S6_PS1_21rocsparse_index_base_S8_S8_S8_bb: ; @_ZN9rocsparseL35csrgemm_symbolic_fill_block_per_rowILj1024ELj64ELj8192ELj137ELj32EllEEvT5_PKS1_S3_PKT4_S3_S6_S3_S6_S3_S6_PS1_21rocsparse_index_base_S8_S8_S8_bb
; %bb.0:
	s_load_dwordx4 s[72:75], s[4:5], 0x0
	s_load_dwordx2 s[0:1], s[4:5], 0x10
	v_lshl_add_u32 v11, v0, 3, 0
	s_mov_b32 s7, 0
	s_waitcnt lgkmcnt(0)
	v_mov_b32_e32 v1, s72
	v_mov_b32_e32 v3, s72
	;; [unrolled: 1-line block ×4, first 2 shown]
	ds_write2st64_b64 v11, v[1:2], v[3:4] offset1:16
	ds_write2st64_b64 v11, v[1:2], v[3:4] offset0:32 offset1:48
	ds_write2st64_b64 v11, v[1:2], v[3:4] offset0:64 offset1:80
	;; [unrolled: 1-line block ×3, first 2 shown]
	s_waitcnt lgkmcnt(0)
	s_barrier
	s_load_dwordx2 s[2:3], s[74:75], 0x0
	s_load_dword s28, s[4:5], 0x68
	s_load_dwordx4 s[36:39], s[4:5], 0x58
	s_waitcnt lgkmcnt(0)
	s_lshl_b64 s[2:3], s[2:3], 3
	s_add_u32 s2, s0, s2
	s_addc_u32 s3, s1, s3
	s_lshl_b64 s[0:1], s[6:7], 3
	s_add_u32 s0, s2, s0
	s_addc_u32 s1, s3, s1
	s_load_dwordx2 s[30:31], s[0:1], 0x0
	s_bitcmp0_b32 s28, 0
	s_cbranch_scc1 .LBB62_16
; %bb.1:
	s_load_dwordx2 s[0:1], s[4:5], 0x18
	s_waitcnt lgkmcnt(0)
	s_lshl_b64 s[2:3], s[30:31], 3
	v_lshrrev_b32_e32 v1, 6, v0
	v_subrev_co_u32_e32 v1, vcc, s36, v1
	s_add_u32 s6, s0, s2
	s_addc_u32 s7, s1, s3
	s_load_dwordx4 s[0:3], s[6:7], 0x0
	v_subb_co_u32_e64 v2, s[6:7], 0, 0, vcc
	s_waitcnt lgkmcnt(0)
	s_sub_u32 s6, s2, s36
	v_mov_b32_e32 v3, s1
	v_add_co_u32_e32 v1, vcc, s0, v1
	s_subb_u32 s7, s3, 0
	v_addc_co_u32_e32 v2, vcc, v3, v2, vcc
	v_cmp_gt_i64_e32 vcc, s[6:7], v[1:2]
	s_and_saveexec_b64 s[8:9], vcc
	s_cbranch_execz .LBB62_15
; %bb.2:
	s_load_dwordx4 s[0:3], s[4:5], 0x20
	s_load_dwordx2 s[10:11], s[4:5], 0x30
	v_and_b32_e32 v3, 63, v0
	v_subrev_co_u32_e32 v12, vcc, s37, v3
	v_subb_co_u32_e64 v13, s[12:13], 0, 0, vcc
	s_mov_b32 s29, s37
	s_mov_b64 s[12:13], 0
	s_waitcnt lgkmcnt(0)
	v_mov_b32_e32 v14, s1
	v_mov_b32_e32 v15, s3
	s_movk_i32 s1, 0x89
	s_branch .LBB62_4
.LBB62_3:                               ;   in Loop: Header=BB62_4 Depth=1
	s_or_b64 exec, exec, s[14:15]
	v_add_co_u32_e32 v1, vcc, 16, v1
	v_addc_co_u32_e32 v2, vcc, 0, v2, vcc
	v_cmp_le_i64_e32 vcc, s[6:7], v[1:2]
	s_or_b64 s[12:13], vcc, s[12:13]
	s_andn2_b64 exec, exec, s[12:13]
	s_cbranch_execz .LBB62_15
.LBB62_4:                               ; =>This Loop Header: Depth=1
                                        ;     Child Loop BB62_7 Depth 2
                                        ;       Child Loop BB62_10 Depth 3
	v_lshlrev_b64 v[3:4], 3, v[1:2]
	v_add_co_u32_e32 v3, vcc, s0, v3
	v_addc_co_u32_e32 v4, vcc, v14, v4, vcc
	global_load_dwordx2 v[3:4], v[3:4], off
	s_waitcnt vmcnt(0)
	v_subrev_co_u32_e32 v3, vcc, s36, v3
	v_subbrev_co_u32_e32 v4, vcc, 0, v4, vcc
	v_lshlrev_b64 v[3:4], 3, v[3:4]
	v_add_co_u32_e32 v3, vcc, s2, v3
	v_addc_co_u32_e32 v4, vcc, v15, v4, vcc
	global_load_dwordx4 v[5:8], v[3:4], off
	s_waitcnt vmcnt(0)
	v_subrev_co_u32_e32 v3, vcc, s29, v7
	v_subbrev_co_u32_e32 v4, vcc, 0, v8, vcc
	v_add_co_u32_e32 v5, vcc, v5, v12
	v_addc_co_u32_e32 v6, vcc, v6, v13, vcc
	v_cmp_lt_i64_e32 vcc, v[5:6], v[3:4]
	s_and_saveexec_b64 s[14:15], vcc
	s_cbranch_execz .LBB62_3
; %bb.5:                                ;   in Loop: Header=BB62_4 Depth=1
	s_mov_b64 s[16:17], 0
	s_branch .LBB62_7
.LBB62_6:                               ;   in Loop: Header=BB62_7 Depth=2
	s_or_b64 exec, exec, s[18:19]
	v_add_co_u32_e32 v5, vcc, 64, v5
	v_addc_co_u32_e32 v6, vcc, 0, v6, vcc
	v_cmp_ge_i64_e32 vcc, v[5:6], v[3:4]
	s_or_b64 s[16:17], vcc, s[16:17]
	s_andn2_b64 exec, exec, s[16:17]
	s_cbranch_execz .LBB62_3
.LBB62_7:                               ;   Parent Loop BB62_4 Depth=1
                                        ; =>  This Loop Header: Depth=2
                                        ;       Child Loop BB62_10 Depth 3
	v_lshlrev_b64 v[7:8], 3, v[5:6]
	v_mov_b32_e32 v9, s11
	v_add_co_u32_e32 v7, vcc, s10, v7
	v_addc_co_u32_e32 v8, vcc, v9, v8, vcc
	global_load_dwordx2 v[7:8], v[7:8], off
	s_mov_b64 s[18:19], 0
                                        ; implicit-def: $sgpr20_sgpr21
	s_waitcnt vmcnt(0)
	v_subrev_co_u32_e32 v7, vcc, s29, v7
	v_mul_lo_u32 v9, v7, s1
	v_subbrev_co_u32_e32 v8, vcc, 0, v8, vcc
	v_and_b32_e32 v16, 0x1fff, v9
	s_branch .LBB62_10
.LBB62_8:                               ;   in Loop: Header=BB62_10 Depth=3
	s_or_b64 exec, exec, s[24:25]
	s_andn2_b64 s[20:21], s[20:21], exec
	s_and_b64 s[24:25], s[26:27], exec
	s_or_b64 s[20:21], s[20:21], s[24:25]
.LBB62_9:                               ;   in Loop: Header=BB62_10 Depth=3
	s_or_b64 exec, exec, s[22:23]
	s_xor_b64 s[22:23], s[20:21], -1
	s_and_b64 s[22:23], exec, s[22:23]
	s_or_b64 s[18:19], s[22:23], s[18:19]
	s_andn2_b64 exec, exec, s[18:19]
	s_cbranch_execz .LBB62_6
.LBB62_10:                              ;   Parent Loop BB62_4 Depth=1
                                        ;     Parent Loop BB62_7 Depth=2
                                        ; =>    This Inner Loop Header: Depth=3
	v_lshl_add_u32 v17, v16, 3, 0
	ds_read_b64 v[9:10], v17
	s_andn2_b64 s[20:21], s[20:21], exec
	s_waitcnt lgkmcnt(0)
	v_cmp_ne_u64_e32 vcc, v[9:10], v[7:8]
	s_and_saveexec_b64 s[22:23], vcc
	s_cbranch_execz .LBB62_9
; %bb.11:                               ;   in Loop: Header=BB62_10 Depth=3
	v_cmp_ne_u64_e32 vcc, s[72:73], v[9:10]
	s_and_saveexec_b64 s[24:25], vcc
	s_xor_b64 s[24:25], exec, s[24:25]
; %bb.12:                               ;   in Loop: Header=BB62_10 Depth=3
	v_add_u32_e32 v9, 1, v16
	v_and_b32_e32 v16, 0x1fff, v9
                                        ; implicit-def: $vgpr17
; %bb.13:                               ;   in Loop: Header=BB62_10 Depth=3
	s_or_saveexec_b64 s[24:25], s[24:25]
	s_mov_b64 s[26:27], -1
	s_xor_b64 exec, exec, s[24:25]
	s_cbranch_execz .LBB62_8
; %bb.14:                               ;   in Loop: Header=BB62_10 Depth=3
	v_mov_b32_e32 v9, s72
	v_mov_b32_e32 v10, s73
	ds_cmpst_rtn_b64 v[9:10], v17, v[9:10], v[7:8]
	s_waitcnt lgkmcnt(0)
	v_cmp_ne_u64_e32 vcc, s[72:73], v[9:10]
	s_orn2_b64 s[26:27], vcc, exec
	s_branch .LBB62_8
.LBB62_15:
	s_or_b64 exec, exec, s[8:9]
.LBB62_16:
	s_load_dwordx4 s[68:71], s[4:5], 0x48
	s_bfe_u32 s0, s28, 0x10008
	s_cmp_eq_u32 s0, 0
	s_cbranch_scc1 .LBB62_29
; %bb.17:
	s_load_dwordx2 s[0:1], s[4:5], 0x38
	s_waitcnt lgkmcnt(0)
	s_lshl_b64 s[2:3], s[30:31], 3
	v_subrev_co_u32_e32 v1, vcc, s39, v0
	s_add_u32 s0, s0, s2
	s_addc_u32 s1, s1, s3
	s_load_dwordx4 s[8:11], s[0:1], 0x0
	v_subb_co_u32_e64 v2, s[0:1], 0, 0, vcc
	s_waitcnt lgkmcnt(0)
	s_sub_u32 s0, s10, s39
	v_mov_b32_e32 v3, s9
	v_add_co_u32_e32 v1, vcc, s8, v1
	s_subb_u32 s1, s11, 0
	v_addc_co_u32_e32 v2, vcc, v3, v2, vcc
	v_cmp_gt_i64_e32 vcc, s[0:1], v[1:2]
	s_and_saveexec_b64 s[2:3], vcc
	s_cbranch_execz .LBB62_28
; %bb.18:
	s_load_dwordx2 s[4:5], s[4:5], 0x40
	s_mov_b32 s18, s39
	s_mov_b64 s[6:7], 0
	s_waitcnt lgkmcnt(0)
	v_mov_b32_e32 v7, s5
	s_movk_i32 s5, 0x89
	s_branch .LBB62_20
.LBB62_19:                              ;   in Loop: Header=BB62_20 Depth=1
	s_or_b64 exec, exec, s[8:9]
	v_add_co_u32_e32 v1, vcc, 0x400, v1
	v_addc_co_u32_e32 v2, vcc, 0, v2, vcc
	v_cmp_le_i64_e32 vcc, s[0:1], v[1:2]
	s_or_b64 s[6:7], vcc, s[6:7]
	s_andn2_b64 exec, exec, s[6:7]
	s_cbranch_execz .LBB62_28
.LBB62_20:                              ; =>This Loop Header: Depth=1
                                        ;     Child Loop BB62_23 Depth 2
	v_lshlrev_b64 v[3:4], 3, v[1:2]
	s_mov_b64 s[8:9], 0
	v_add_co_u32_e32 v3, vcc, s4, v3
	v_addc_co_u32_e32 v4, vcc, v7, v4, vcc
	global_load_dwordx2 v[3:4], v[3:4], off
                                        ; implicit-def: $sgpr10_sgpr11
	s_waitcnt vmcnt(0)
	v_subrev_co_u32_e32 v3, vcc, s18, v3
	v_mul_lo_u32 v5, v3, s5
	v_subbrev_co_u32_e32 v4, vcc, 0, v4, vcc
	v_and_b32_e32 v8, 0x1fff, v5
	s_branch .LBB62_23
.LBB62_21:                              ;   in Loop: Header=BB62_23 Depth=2
	s_or_b64 exec, exec, s[14:15]
	s_andn2_b64 s[10:11], s[10:11], exec
	s_and_b64 s[14:15], s[16:17], exec
	s_or_b64 s[10:11], s[10:11], s[14:15]
.LBB62_22:                              ;   in Loop: Header=BB62_23 Depth=2
	s_or_b64 exec, exec, s[12:13]
	s_xor_b64 s[12:13], s[10:11], -1
	s_and_b64 s[12:13], exec, s[12:13]
	s_or_b64 s[8:9], s[12:13], s[8:9]
	s_andn2_b64 exec, exec, s[8:9]
	s_cbranch_execz .LBB62_19
.LBB62_23:                              ;   Parent Loop BB62_20 Depth=1
                                        ; =>  This Inner Loop Header: Depth=2
	v_lshl_add_u32 v9, v8, 3, 0
	ds_read_b64 v[5:6], v9
	s_andn2_b64 s[10:11], s[10:11], exec
	s_waitcnt lgkmcnt(0)
	v_cmp_ne_u64_e32 vcc, v[5:6], v[3:4]
	s_and_saveexec_b64 s[12:13], vcc
	s_cbranch_execz .LBB62_22
; %bb.24:                               ;   in Loop: Header=BB62_23 Depth=2
	v_cmp_ne_u64_e32 vcc, s[72:73], v[5:6]
	s_and_saveexec_b64 s[14:15], vcc
	s_xor_b64 s[14:15], exec, s[14:15]
; %bb.25:                               ;   in Loop: Header=BB62_23 Depth=2
	v_add_u32_e32 v5, 1, v8
	v_and_b32_e32 v8, 0x1fff, v5
                                        ; implicit-def: $vgpr9
; %bb.26:                               ;   in Loop: Header=BB62_23 Depth=2
	s_or_saveexec_b64 s[14:15], s[14:15]
	s_mov_b64 s[16:17], -1
	s_xor_b64 exec, exec, s[14:15]
	s_cbranch_execz .LBB62_21
; %bb.27:                               ;   in Loop: Header=BB62_23 Depth=2
	v_mov_b32_e32 v5, s72
	v_mov_b32_e32 v6, s73
	ds_cmpst_rtn_b64 v[5:6], v9, v[5:6], v[3:4]
	s_waitcnt lgkmcnt(0)
	v_cmp_ne_u64_e32 vcc, s[72:73], v[5:6]
	s_orn2_b64 s[16:17], vcc, exec
	s_branch .LBB62_21
.LBB62_28:
	s_or_b64 exec, exec, s[2:3]
.LBB62_29:
                                        ; implicit-def: $vgpr22 : SGPR spill to VGPR lane
	s_movk_i32 s33, 0x25f
	s_waitcnt lgkmcnt(0)
	v_writelane_b32 v22, s30, 0
	v_writelane_b32 v22, s31, 1
	;; [unrolled: 1-line block ×5, first 2 shown]
	v_cmp_lt_u32_e64 s[34:35], s33, v0
	s_movk_i32 s33, 0x27f
	v_writelane_b32 v22, s39, 5
	v_cmp_lt_u32_e64 s[36:37], s33, v0
	s_movk_i32 s33, 0x29f
	v_cmp_lt_u32_e64 s[38:39], s33, v0
	s_movk_i32 s33, 0x2bf
	v_cmp_lt_u32_e64 s[40:41], s33, v0
	s_movk_i32 s33, 0x2df
	v_cmp_lt_u32_e64 s[42:43], s33, v0
	s_movk_i32 s33, 0x2ff
	v_cmp_lt_u32_e64 s[44:45], s33, v0
	s_movk_i32 s33, 0x31f
	v_cmp_lt_u32_e64 s[46:47], s33, v0
	s_movk_i32 s33, 0x33f
	v_cmp_lt_u32_e64 s[48:49], s33, v0
	s_movk_i32 s33, 0x35f
	v_cmp_lt_u32_e64 s[50:51], s33, v0
	s_movk_i32 s33, 0x37f
	v_cmp_lt_u32_e64 s[52:53], s33, v0
	s_movk_i32 s33, 0x39f
	v_cmp_lt_u32_e64 s[54:55], s33, v0
	s_movk_i32 s33, 0x3bf
	s_add_i32 s0, 0, 0x10000
	v_cmp_lt_u32_e64 s[56:57], s33, v0
	s_movk_i32 s33, 0x3df
	v_writelane_b32 v22, s0, 6
	v_cmp_lt_u32_e64 s[58:59], s33, v0
	s_add_i32 s33, 0, 0x10008
	v_writelane_b32 v22, s33, 7
	s_add_i32 s33, 0, 0x10010
	v_writelane_b32 v22, s33, 8
	;; [unrolled: 2-line block ×4, first 2 shown]
	s_add_i32 s33, 0, 0x10028
	v_mbcnt_lo_u32_b32 v1, -1, 0
	v_writelane_b32 v22, s33, 11
	s_add_i32 s33, 0, 0x10030
	v_mbcnt_hi_u32_b32 v1, -1, v1
	v_writelane_b32 v22, s33, 12
	s_add_i32 s33, 0, 0x10038
	v_sub_u32_e32 v1, 63, v1
	v_writelane_b32 v22, s33, 13
	s_add_i32 s33, 0, 0x10040
	v_lshrrev_b64 v[3:4], v1, -1
	v_lshrrev_b32_e32 v1, 2, v0
	v_writelane_b32 v22, s33, 14
	s_add_i32 s33, 0, 0x10048
	v_and_b32_e32 v1, 0xf8, v1
	v_writelane_b32 v22, s33, 15
	s_add_i32 s33, 0, 0x10050
	v_add_u32_e32 v12, s0, v1
	s_movk_i32 s0, 0x3ff
	v_writelane_b32 v22, s33, 16
	s_add_i32 s33, 0, 0x10058
	v_cmp_eq_u32_e32 vcc, s0, v0
	s_movk_i32 s0, 0x5f
	s_movk_i32 s2, 0x7f
	;; [unrolled: 1-line block ×16, first 2 shown]
	v_mov_b32_e32 v5, 0
	v_writelane_b32 v22, s33, 17
	s_add_i32 s33, 0, 0x10068
	v_mov_b32_e32 v2, 0
	v_cmp_lt_u32_e64 s[0:1], s0, v0
	v_cmp_lt_u32_e64 s[2:3], s2, v0
	;; [unrolled: 1-line block ×16, first 2 shown]
	v_or_b32_e32 v13, 0xfffffc00, v0
	v_mov_b32_e32 v6, 0
	s_add_i32 s89, 0, 0x10060
	v_writelane_b32 v22, s33, 18
	s_add_i32 s92, 0, 0x10070
	s_add_i32 s93, 0, 0x10078
	;; [unrolled: 1-line block ×18, first 2 shown]
	v_cmp_lt_u32_e64 s[60:61], 31, v0
	v_cmp_lt_u32_e64 s[62:63], 63, v0
	s_mov_b64 s[76:77], 0
	s_barrier
	s_branch .LBB62_31
.LBB62_30:                              ;   in Loop: Header=BB62_31 Depth=1
	s_or_b64 exec, exec, s[64:65]
	v_mov_b32_e32 v1, s88
	s_waitcnt lgkmcnt(0)
	s_barrier
	ds_read_b64 v[7:8], v1
	v_add_u32_e32 v13, 0x400, v13
	v_add_u32_e32 v11, 0x2000, v11
	s_waitcnt lgkmcnt(0)
	v_add_co_u32_e64 v5, s[64:65], v7, v5
	v_addc_co_u32_e64 v6, s[64:65], v8, v6, s[64:65]
	s_movk_i32 s64, 0x1bff
	v_cmp_lt_u32_e64 s[64:65], s64, v13
	s_or_b64 s[76:77], s[64:65], s[76:77]
	s_andn2_b64 exec, exec, s[76:77]
	s_cbranch_execz .LBB62_97
.LBB62_31:                              ; =>This Inner Loop Header: Depth=1
	ds_read_b64 v[7:8], v11
	s_waitcnt lgkmcnt(0)
	s_barrier
	v_cmp_gt_i64_e64 s[64:65], s[72:73], v[7:8]
	v_and_b32_e32 v10, s64, v3
	s_bcnt1_i32_b64 s78, s[64:65]
	v_and_b32_e32 v9, s65, v4
	v_bcnt_u32_b32 v10, v10, 0
	v_mov_b32_e32 v1, s78
	v_bcnt_u32_b32 v9, v9, v10
	ds_write_b64 v12, v[1:2]
	s_waitcnt lgkmcnt(0)
	s_barrier
	s_and_saveexec_b64 s[78:79], s[60:61]
	s_cbranch_execnz .LBB62_64
; %bb.32:                               ;   in Loop: Header=BB62_31 Depth=1
	s_or_b64 exec, exec, s[78:79]
	s_and_saveexec_b64 s[78:79], s[62:63]
	s_cbranch_execnz .LBB62_65
.LBB62_33:                              ;   in Loop: Header=BB62_31 Depth=1
	s_or_b64 exec, exec, s[78:79]
	s_and_saveexec_b64 s[78:79], s[0:1]
	s_cbranch_execnz .LBB62_66
.LBB62_34:                              ;   in Loop: Header=BB62_31 Depth=1
	s_or_b64 exec, exec, s[78:79]
	s_and_saveexec_b64 s[78:79], s[2:3]
	s_cbranch_execnz .LBB62_67
.LBB62_35:                              ;   in Loop: Header=BB62_31 Depth=1
	s_or_b64 exec, exec, s[78:79]
	s_and_saveexec_b64 s[78:79], s[4:5]
	s_cbranch_execnz .LBB62_68
.LBB62_36:                              ;   in Loop: Header=BB62_31 Depth=1
	s_or_b64 exec, exec, s[78:79]
	s_and_saveexec_b64 s[78:79], s[6:7]
	s_cbranch_execnz .LBB62_69
.LBB62_37:                              ;   in Loop: Header=BB62_31 Depth=1
	s_or_b64 exec, exec, s[78:79]
	s_and_saveexec_b64 s[78:79], s[8:9]
	s_cbranch_execnz .LBB62_70
.LBB62_38:                              ;   in Loop: Header=BB62_31 Depth=1
	s_or_b64 exec, exec, s[78:79]
	s_and_saveexec_b64 s[78:79], s[10:11]
	s_cbranch_execnz .LBB62_71
.LBB62_39:                              ;   in Loop: Header=BB62_31 Depth=1
	s_or_b64 exec, exec, s[78:79]
	s_and_saveexec_b64 s[78:79], s[12:13]
	s_cbranch_execnz .LBB62_72
.LBB62_40:                              ;   in Loop: Header=BB62_31 Depth=1
	s_or_b64 exec, exec, s[78:79]
	s_and_saveexec_b64 s[78:79], s[14:15]
	s_cbranch_execnz .LBB62_73
.LBB62_41:                              ;   in Loop: Header=BB62_31 Depth=1
	s_or_b64 exec, exec, s[78:79]
	s_and_saveexec_b64 s[78:79], s[16:17]
	s_cbranch_execnz .LBB62_74
.LBB62_42:                              ;   in Loop: Header=BB62_31 Depth=1
	s_or_b64 exec, exec, s[78:79]
	s_and_saveexec_b64 s[78:79], s[18:19]
	s_cbranch_execnz .LBB62_75
.LBB62_43:                              ;   in Loop: Header=BB62_31 Depth=1
	s_or_b64 exec, exec, s[78:79]
	s_and_saveexec_b64 s[78:79], s[20:21]
	s_cbranch_execnz .LBB62_76
.LBB62_44:                              ;   in Loop: Header=BB62_31 Depth=1
	s_or_b64 exec, exec, s[78:79]
	s_and_saveexec_b64 s[78:79], s[22:23]
	s_cbranch_execnz .LBB62_77
.LBB62_45:                              ;   in Loop: Header=BB62_31 Depth=1
	s_or_b64 exec, exec, s[78:79]
	s_and_saveexec_b64 s[78:79], s[24:25]
	s_cbranch_execnz .LBB62_78
.LBB62_46:                              ;   in Loop: Header=BB62_31 Depth=1
	s_or_b64 exec, exec, s[78:79]
	s_and_saveexec_b64 s[78:79], s[26:27]
	s_cbranch_execnz .LBB62_79
.LBB62_47:                              ;   in Loop: Header=BB62_31 Depth=1
	s_or_b64 exec, exec, s[78:79]
	s_and_saveexec_b64 s[78:79], s[28:29]
	s_cbranch_execnz .LBB62_80
.LBB62_48:                              ;   in Loop: Header=BB62_31 Depth=1
	s_or_b64 exec, exec, s[78:79]
	s_and_saveexec_b64 s[78:79], s[30:31]
	s_cbranch_execnz .LBB62_81
.LBB62_49:                              ;   in Loop: Header=BB62_31 Depth=1
	s_or_b64 exec, exec, s[78:79]
	s_and_saveexec_b64 s[78:79], s[34:35]
	s_cbranch_execnz .LBB62_82
.LBB62_50:                              ;   in Loop: Header=BB62_31 Depth=1
	s_or_b64 exec, exec, s[78:79]
	s_and_saveexec_b64 s[78:79], s[36:37]
	s_cbranch_execnz .LBB62_83
.LBB62_51:                              ;   in Loop: Header=BB62_31 Depth=1
	s_or_b64 exec, exec, s[78:79]
	s_and_saveexec_b64 s[78:79], s[38:39]
	s_cbranch_execnz .LBB62_84
.LBB62_52:                              ;   in Loop: Header=BB62_31 Depth=1
	s_or_b64 exec, exec, s[78:79]
	s_and_saveexec_b64 s[78:79], s[40:41]
	s_cbranch_execnz .LBB62_85
.LBB62_53:                              ;   in Loop: Header=BB62_31 Depth=1
	s_or_b64 exec, exec, s[78:79]
	s_and_saveexec_b64 s[78:79], s[42:43]
	s_cbranch_execnz .LBB62_86
.LBB62_54:                              ;   in Loop: Header=BB62_31 Depth=1
	s_or_b64 exec, exec, s[78:79]
	s_and_saveexec_b64 s[78:79], s[44:45]
	s_cbranch_execnz .LBB62_87
.LBB62_55:                              ;   in Loop: Header=BB62_31 Depth=1
	s_or_b64 exec, exec, s[78:79]
	s_and_saveexec_b64 s[78:79], s[46:47]
	s_cbranch_execnz .LBB62_88
.LBB62_56:                              ;   in Loop: Header=BB62_31 Depth=1
	s_or_b64 exec, exec, s[78:79]
	s_and_saveexec_b64 s[78:79], s[48:49]
	s_cbranch_execnz .LBB62_89
.LBB62_57:                              ;   in Loop: Header=BB62_31 Depth=1
	s_or_b64 exec, exec, s[78:79]
	s_and_saveexec_b64 s[78:79], s[50:51]
	s_cbranch_execnz .LBB62_90
.LBB62_58:                              ;   in Loop: Header=BB62_31 Depth=1
	s_or_b64 exec, exec, s[78:79]
	s_and_saveexec_b64 s[78:79], s[52:53]
	s_cbranch_execnz .LBB62_91
.LBB62_59:                              ;   in Loop: Header=BB62_31 Depth=1
	s_or_b64 exec, exec, s[78:79]
	s_and_saveexec_b64 s[78:79], s[54:55]
	s_cbranch_execnz .LBB62_92
.LBB62_60:                              ;   in Loop: Header=BB62_31 Depth=1
	s_or_b64 exec, exec, s[78:79]
	s_and_saveexec_b64 s[78:79], s[56:57]
	s_cbranch_execnz .LBB62_93
.LBB62_61:                              ;   in Loop: Header=BB62_31 Depth=1
	s_or_b64 exec, exec, s[78:79]
	s_and_saveexec_b64 s[78:79], s[58:59]
	s_cbranch_execnz .LBB62_94
.LBB62_62:                              ;   in Loop: Header=BB62_31 Depth=1
	s_or_b64 exec, exec, s[78:79]
	v_ashrrev_i32_e32 v10, 31, v9
	s_and_saveexec_b64 s[78:79], s[64:65]
	s_cbranch_execnz .LBB62_95
.LBB62_63:                              ;   in Loop: Header=BB62_31 Depth=1
	s_or_b64 exec, exec, s[78:79]
	s_and_saveexec_b64 s[64:65], vcc
	s_cbranch_execz .LBB62_30
	s_branch .LBB62_96
.LBB62_64:                              ;   in Loop: Header=BB62_31 Depth=1
	v_readlane_b32 s90, v22, 6
	v_mov_b32_e32 v1, s90
	ds_read_b32 v1, v1
	s_waitcnt lgkmcnt(0)
	v_add_u32_e32 v9, v1, v9
	s_or_b64 exec, exec, s[78:79]
	s_and_saveexec_b64 s[78:79], s[62:63]
	s_cbranch_execz .LBB62_33
.LBB62_65:                              ;   in Loop: Header=BB62_31 Depth=1
	v_readlane_b32 s90, v22, 7
	v_mov_b32_e32 v1, s90
	ds_read_b32 v1, v1
	s_waitcnt lgkmcnt(0)
	v_add_u32_e32 v9, v9, v1
	s_or_b64 exec, exec, s[78:79]
	s_and_saveexec_b64 s[78:79], s[0:1]
	s_cbranch_execz .LBB62_34
.LBB62_66:                              ;   in Loop: Header=BB62_31 Depth=1
	v_readlane_b32 s90, v22, 8
	v_mov_b32_e32 v1, s90
	ds_read_b32 v1, v1
	s_waitcnt lgkmcnt(0)
	v_add_u32_e32 v9, v9, v1
	s_or_b64 exec, exec, s[78:79]
	s_and_saveexec_b64 s[78:79], s[2:3]
	s_cbranch_execz .LBB62_35
.LBB62_67:                              ;   in Loop: Header=BB62_31 Depth=1
	v_readlane_b32 s90, v22, 9
	v_mov_b32_e32 v1, s90
	ds_read_b32 v1, v1
	s_waitcnt lgkmcnt(0)
	v_add_u32_e32 v9, v9, v1
	s_or_b64 exec, exec, s[78:79]
	s_and_saveexec_b64 s[78:79], s[4:5]
	s_cbranch_execz .LBB62_36
.LBB62_68:                              ;   in Loop: Header=BB62_31 Depth=1
	v_readlane_b32 s90, v22, 10
	v_mov_b32_e32 v1, s90
	ds_read_b32 v1, v1
	s_waitcnt lgkmcnt(0)
	v_add_u32_e32 v9, v9, v1
	s_or_b64 exec, exec, s[78:79]
	s_and_saveexec_b64 s[78:79], s[6:7]
	s_cbranch_execz .LBB62_37
.LBB62_69:                              ;   in Loop: Header=BB62_31 Depth=1
	v_readlane_b32 s90, v22, 11
	v_mov_b32_e32 v1, s90
	ds_read_b32 v1, v1
	s_waitcnt lgkmcnt(0)
	v_add_u32_e32 v9, v9, v1
	s_or_b64 exec, exec, s[78:79]
	s_and_saveexec_b64 s[78:79], s[8:9]
	s_cbranch_execz .LBB62_38
.LBB62_70:                              ;   in Loop: Header=BB62_31 Depth=1
	v_readlane_b32 s90, v22, 12
	v_mov_b32_e32 v1, s90
	ds_read_b32 v1, v1
	s_waitcnt lgkmcnt(0)
	v_add_u32_e32 v9, v9, v1
	s_or_b64 exec, exec, s[78:79]
	s_and_saveexec_b64 s[78:79], s[10:11]
	s_cbranch_execz .LBB62_39
.LBB62_71:                              ;   in Loop: Header=BB62_31 Depth=1
	v_readlane_b32 s90, v22, 13
	v_mov_b32_e32 v1, s90
	ds_read_b32 v1, v1
	s_waitcnt lgkmcnt(0)
	v_add_u32_e32 v9, v9, v1
	s_or_b64 exec, exec, s[78:79]
	s_and_saveexec_b64 s[78:79], s[12:13]
	s_cbranch_execz .LBB62_40
.LBB62_72:                              ;   in Loop: Header=BB62_31 Depth=1
	v_readlane_b32 s90, v22, 14
	v_mov_b32_e32 v1, s90
	ds_read_b32 v1, v1
	s_waitcnt lgkmcnt(0)
	v_add_u32_e32 v9, v9, v1
	s_or_b64 exec, exec, s[78:79]
	s_and_saveexec_b64 s[78:79], s[14:15]
	s_cbranch_execz .LBB62_41
.LBB62_73:                              ;   in Loop: Header=BB62_31 Depth=1
	v_readlane_b32 s90, v22, 15
	v_mov_b32_e32 v1, s90
	ds_read_b32 v1, v1
	s_waitcnt lgkmcnt(0)
	v_add_u32_e32 v9, v9, v1
	s_or_b64 exec, exec, s[78:79]
	s_and_saveexec_b64 s[78:79], s[16:17]
	s_cbranch_execz .LBB62_42
.LBB62_74:                              ;   in Loop: Header=BB62_31 Depth=1
	v_readlane_b32 s90, v22, 16
	v_mov_b32_e32 v1, s90
	ds_read_b32 v1, v1
	s_waitcnt lgkmcnt(0)
	v_add_u32_e32 v9, v9, v1
	s_or_b64 exec, exec, s[78:79]
	s_and_saveexec_b64 s[78:79], s[18:19]
	s_cbranch_execz .LBB62_43
.LBB62_75:                              ;   in Loop: Header=BB62_31 Depth=1
	v_readlane_b32 s90, v22, 17
	v_mov_b32_e32 v1, s90
	ds_read_b32 v1, v1
	s_waitcnt lgkmcnt(0)
	v_add_u32_e32 v9, v9, v1
	s_or_b64 exec, exec, s[78:79]
	s_and_saveexec_b64 s[78:79], s[20:21]
	s_cbranch_execz .LBB62_44
.LBB62_76:                              ;   in Loop: Header=BB62_31 Depth=1
	v_mov_b32_e32 v1, s89
	ds_read_b32 v1, v1
	s_waitcnt lgkmcnt(0)
	v_add_u32_e32 v9, v9, v1
	s_or_b64 exec, exec, s[78:79]
	s_and_saveexec_b64 s[78:79], s[22:23]
	s_cbranch_execz .LBB62_45
.LBB62_77:                              ;   in Loop: Header=BB62_31 Depth=1
	v_readlane_b32 s90, v22, 18
	v_mov_b32_e32 v1, s90
	ds_read_b32 v1, v1
	s_waitcnt lgkmcnt(0)
	v_add_u32_e32 v9, v9, v1
	s_or_b64 exec, exec, s[78:79]
	s_and_saveexec_b64 s[78:79], s[24:25]
	s_cbranch_execz .LBB62_46
.LBB62_78:                              ;   in Loop: Header=BB62_31 Depth=1
	v_mov_b32_e32 v1, s92
	ds_read_b32 v1, v1
	s_waitcnt lgkmcnt(0)
	v_add_u32_e32 v9, v9, v1
	s_or_b64 exec, exec, s[78:79]
	s_and_saveexec_b64 s[78:79], s[26:27]
	s_cbranch_execz .LBB62_47
.LBB62_79:                              ;   in Loop: Header=BB62_31 Depth=1
	v_mov_b32_e32 v1, s93
	ds_read_b32 v1, v1
	s_waitcnt lgkmcnt(0)
	v_add_u32_e32 v9, v9, v1
	s_or_b64 exec, exec, s[78:79]
	s_and_saveexec_b64 s[78:79], s[28:29]
	s_cbranch_execz .LBB62_48
.LBB62_80:                              ;   in Loop: Header=BB62_31 Depth=1
	v_mov_b32_e32 v1, s94
	ds_read_b32 v1, v1
	s_waitcnt lgkmcnt(0)
	v_add_u32_e32 v9, v9, v1
	s_or_b64 exec, exec, s[78:79]
	s_and_saveexec_b64 s[78:79], s[30:31]
	s_cbranch_execz .LBB62_49
.LBB62_81:                              ;   in Loop: Header=BB62_31 Depth=1
	v_mov_b32_e32 v1, s95
	ds_read_b32 v1, v1
	s_waitcnt lgkmcnt(0)
	v_add_u32_e32 v9, v9, v1
	s_or_b64 exec, exec, s[78:79]
	s_and_saveexec_b64 s[78:79], s[34:35]
	s_cbranch_execz .LBB62_50
.LBB62_82:                              ;   in Loop: Header=BB62_31 Depth=1
	v_mov_b32_e32 v1, s74
	ds_read_b32 v1, v1
	s_waitcnt lgkmcnt(0)
	v_add_u32_e32 v9, v9, v1
	s_or_b64 exec, exec, s[78:79]
	s_and_saveexec_b64 s[78:79], s[36:37]
	s_cbranch_execz .LBB62_51
.LBB62_83:                              ;   in Loop: Header=BB62_31 Depth=1
	v_mov_b32_e32 v1, s75
	ds_read_b32 v1, v1
	s_waitcnt lgkmcnt(0)
	v_add_u32_e32 v9, v9, v1
	s_or_b64 exec, exec, s[78:79]
	s_and_saveexec_b64 s[78:79], s[38:39]
	s_cbranch_execz .LBB62_52
.LBB62_84:                              ;   in Loop: Header=BB62_31 Depth=1
	v_mov_b32_e32 v1, s66
	ds_read_b32 v1, v1
	s_waitcnt lgkmcnt(0)
	v_add_u32_e32 v9, v9, v1
	s_or_b64 exec, exec, s[78:79]
	s_and_saveexec_b64 s[78:79], s[40:41]
	s_cbranch_execz .LBB62_53
.LBB62_85:                              ;   in Loop: Header=BB62_31 Depth=1
	v_mov_b32_e32 v1, s33
	ds_read_b32 v1, v1
	s_waitcnt lgkmcnt(0)
	v_add_u32_e32 v9, v9, v1
	s_or_b64 exec, exec, s[78:79]
	s_and_saveexec_b64 s[78:79], s[42:43]
	s_cbranch_execz .LBB62_54
.LBB62_86:                              ;   in Loop: Header=BB62_31 Depth=1
	v_mov_b32_e32 v1, s67
	ds_read_b32 v1, v1
	s_waitcnt lgkmcnt(0)
	v_add_u32_e32 v9, v9, v1
	s_or_b64 exec, exec, s[78:79]
	s_and_saveexec_b64 s[78:79], s[44:45]
	s_cbranch_execz .LBB62_55
.LBB62_87:                              ;   in Loop: Header=BB62_31 Depth=1
	v_mov_b32_e32 v1, s80
	ds_read_b32 v1, v1
	s_waitcnt lgkmcnt(0)
	v_add_u32_e32 v9, v9, v1
	s_or_b64 exec, exec, s[78:79]
	s_and_saveexec_b64 s[78:79], s[46:47]
	s_cbranch_execz .LBB62_56
.LBB62_88:                              ;   in Loop: Header=BB62_31 Depth=1
	v_mov_b32_e32 v1, s81
	ds_read_b32 v1, v1
	s_waitcnt lgkmcnt(0)
	v_add_u32_e32 v9, v9, v1
	s_or_b64 exec, exec, s[78:79]
	s_and_saveexec_b64 s[78:79], s[48:49]
	s_cbranch_execz .LBB62_57
.LBB62_89:                              ;   in Loop: Header=BB62_31 Depth=1
	v_mov_b32_e32 v1, s82
	ds_read_b32 v1, v1
	s_waitcnt lgkmcnt(0)
	v_add_u32_e32 v9, v9, v1
	s_or_b64 exec, exec, s[78:79]
	s_and_saveexec_b64 s[78:79], s[50:51]
	s_cbranch_execz .LBB62_58
.LBB62_90:                              ;   in Loop: Header=BB62_31 Depth=1
	v_mov_b32_e32 v1, s83
	ds_read_b32 v1, v1
	s_waitcnt lgkmcnt(0)
	v_add_u32_e32 v9, v9, v1
	s_or_b64 exec, exec, s[78:79]
	s_and_saveexec_b64 s[78:79], s[52:53]
	s_cbranch_execz .LBB62_59
.LBB62_91:                              ;   in Loop: Header=BB62_31 Depth=1
	v_mov_b32_e32 v1, s84
	ds_read_b32 v1, v1
	s_waitcnt lgkmcnt(0)
	v_add_u32_e32 v9, v9, v1
	s_or_b64 exec, exec, s[78:79]
	s_and_saveexec_b64 s[78:79], s[54:55]
	s_cbranch_execz .LBB62_60
.LBB62_92:                              ;   in Loop: Header=BB62_31 Depth=1
	v_mov_b32_e32 v1, s85
	ds_read_b32 v1, v1
	s_waitcnt lgkmcnt(0)
	v_add_u32_e32 v9, v9, v1
	s_or_b64 exec, exec, s[78:79]
	s_and_saveexec_b64 s[78:79], s[56:57]
	s_cbranch_execz .LBB62_61
.LBB62_93:                              ;   in Loop: Header=BB62_31 Depth=1
	v_mov_b32_e32 v1, s86
	ds_read_b32 v1, v1
	s_waitcnt lgkmcnt(0)
	v_add_u32_e32 v9, v9, v1
	s_or_b64 exec, exec, s[78:79]
	s_and_saveexec_b64 s[78:79], s[58:59]
	s_cbranch_execz .LBB62_62
.LBB62_94:                              ;   in Loop: Header=BB62_31 Depth=1
	v_mov_b32_e32 v1, s87
	ds_read_b32 v1, v1
	s_waitcnt lgkmcnt(0)
	v_add_u32_e32 v9, v9, v1
	s_or_b64 exec, exec, s[78:79]
	v_ashrrev_i32_e32 v10, 31, v9
	s_and_saveexec_b64 s[78:79], s[64:65]
	s_cbranch_execz .LBB62_63
.LBB62_95:                              ;   in Loop: Header=BB62_31 Depth=1
	v_lshlrev_b32_e32 v1, 3, v5
	v_add_u32_e32 v1, 0, v1
	v_lshlrev_b32_e32 v14, 3, v9
	v_add3_u32 v1, v1, v14, -8
	ds_write_b64 v1, v[7:8]
	s_or_b64 exec, exec, s[78:79]
	s_and_saveexec_b64 s[64:65], vcc
	s_cbranch_execz .LBB62_30
.LBB62_96:                              ;   in Loop: Header=BB62_31 Depth=1
	v_mov_b32_e32 v1, s88
	ds_write_b64 v1, v[9:10]
	s_branch .LBB62_30
.LBB62_97:
	s_or_b64 exec, exec, s[76:77]
	v_readlane_b32 s0, v22, 0
	v_readlane_b32 s1, v22, 1
	s_lshl_b64 s[0:1], s[0:1], 3
	s_add_u32 s4, s68, s0
	s_addc_u32 s5, s69, s1
	s_load_dwordx4 s[0:3], s[4:5], 0x0
	v_mov_b32_e32 v1, 0
	s_waitcnt lgkmcnt(0)
	s_sub_u32 s4, s2, s0
	s_subb_u32 s5, s3, s1
	v_cmp_gt_i64_e32 vcc, s[4:5], v[0:1]
	s_and_saveexec_b64 s[6:7], vcc
	v_readlane_b32 s16, v22, 2
	v_readlane_b32 s18, v22, 4
	;; [unrolled: 1-line block ×4, first 2 shown]
	s_cbranch_execz .LBB62_107
; %bb.98:
	s_sub_u32 s8, s0, s18
	s_subb_u32 s9, s1, 0
	s_and_b32 s6, s4, 7
	s_sub_u32 s0, s0, s2
	s_subb_u32 s1, s1, s3
	v_cmp_lt_u64_e64 s[0:1], s[0:1], -7
	s_mov_b32 s7, 0
	s_and_b32 s10, s4, -8
	s_cmp_lg_u64 s[6:7], 0
	v_cndmask_b32_e64 v2, 0, 1, s[0:1]
	s_mov_b32 s11, s5
	s_mov_b64 s[12:13], 0
	s_cselect_b64 s[14:15], -1, 0
	v_cmp_ne_u32_e64 s[0:1], 1, v2
	s_branch .LBB62_100
.LBB62_99:                              ;   in Loop: Header=BB62_100 Depth=1
	s_waitcnt lgkmcnt(0)
	v_add_co_u32_e32 v2, vcc, s18, v2
	v_addc_co_u32_e32 v3, vcc, 0, v3, vcc
	v_add_co_u32_e32 v0, vcc, 0x400, v0
	v_lshlrev_b64 v[4:5], 3, v[4:5]
	v_addc_co_u32_e32 v1, vcc, 0, v1, vcc
	v_cmp_le_i64_e32 vcc, s[4:5], v[0:1]
	v_mov_b32_e32 v6, s71
	v_add_co_u32_e64 v4, s[2:3], s70, v4
	v_addc_co_u32_e64 v5, s[2:3], v6, v5, s[2:3]
	s_or_b64 s[12:13], vcc, s[12:13]
	global_store_dwordx2 v[4:5], v[2:3], off
	s_andn2_b64 exec, exec, s[12:13]
	s_cbranch_execz .LBB62_107
.LBB62_100:                             ; =>This Loop Header: Depth=1
                                        ;     Child Loop BB62_102 Depth 2
                                        ;     Child Loop BB62_106 Depth 2
	v_lshl_add_u32 v2, v0, 3, 0
	ds_read_b64 v[2:3], v2
	v_mov_b32_e32 v4, s8
	s_and_b64 vcc, exec, s[0:1]
	v_mov_b32_e32 v5, s9
	s_mov_b64 s[2:3], 0
	s_cbranch_vccnz .LBB62_104
; %bb.101:                              ;   in Loop: Header=BB62_100 Depth=1
	v_mov_b32_e32 v4, s8
	s_mov_b32 s16, 0
	v_mov_b32_e32 v5, s9
.LBB62_102:                             ;   Parent Loop BB62_100 Depth=1
                                        ; =>  This Inner Loop Header: Depth=2
	v_mov_b32_e32 v18, s16
	ds_read2_b64 v[6:9], v18 offset1:1
	ds_read2_b64 v[10:13], v18 offset0:2 offset1:3
	ds_read2_b64 v[14:17], v18 offset0:4 offset1:5
	;; [unrolled: 1-line block ×3, first 2 shown]
	s_add_u32 s2, s2, 8
	s_waitcnt lgkmcnt(3)
	v_cmp_gt_i64_e32 vcc, v[2:3], v[6:7]
	s_addc_u32 s3, s3, 0
	v_cndmask_b32_e64 v6, 0, 1, vcc
	v_cmp_gt_i64_e32 vcc, v[2:3], v[8:9]
	s_add_i32 s16, s16, 64
	v_cndmask_b32_e64 v7, 0, 1, vcc
	s_waitcnt lgkmcnt(2)
	v_cmp_gt_i64_e32 vcc, v[2:3], v[10:11]
	s_cmp_eq_u64 s[10:11], s[2:3]
	v_cndmask_b32_e64 v8, 0, 1, vcc
	v_cmp_gt_i64_e32 vcc, v[2:3], v[12:13]
	v_cndmask_b32_e64 v9, 0, 1, vcc
	s_waitcnt lgkmcnt(1)
	v_cmp_gt_i64_e32 vcc, v[2:3], v[14:15]
	v_cndmask_b32_e64 v10, 0, 1, vcc
	v_cmp_gt_i64_e32 vcc, v[2:3], v[16:17]
	v_cndmask_b32_e64 v11, 0, 1, vcc
	s_waitcnt lgkmcnt(0)
	v_cmp_gt_i64_e32 vcc, v[2:3], v[18:19]
	v_cndmask_b32_e64 v12, 0, 1, vcc
	v_cmp_gt_i64_e32 vcc, v[2:3], v[20:21]
	v_cndmask_b32_e64 v13, 0, 1, vcc
	v_add_co_u32_e32 v4, vcc, v4, v6
	v_addc_co_u32_e32 v5, vcc, 0, v5, vcc
	v_add_co_u32_e32 v4, vcc, v4, v7
	v_addc_co_u32_e32 v5, vcc, 0, v5, vcc
	;; [unrolled: 2-line block ×8, first 2 shown]
	s_cbranch_scc0 .LBB62_102
; %bb.103:                              ;   in Loop: Header=BB62_100 Depth=1
	s_mov_b64 s[2:3], s[10:11]
.LBB62_104:                             ;   in Loop: Header=BB62_100 Depth=1
	s_andn2_b64 vcc, exec, s[14:15]
	s_cbranch_vccnz .LBB62_99
; %bb.105:                              ;   in Loop: Header=BB62_100 Depth=1
	s_lshl_b32 s2, s2, 3
	s_add_i32 s16, s2, 0
	s_mov_b64 s[2:3], s[6:7]
.LBB62_106:                             ;   Parent Loop BB62_100 Depth=1
                                        ; =>  This Inner Loop Header: Depth=2
	v_mov_b32_e32 v6, s16
	ds_read_b64 v[6:7], v6
	s_add_i32 s16, s16, 8
	s_add_u32 s2, s2, -1
	s_addc_u32 s3, s3, -1
	s_cmp_lg_u64 s[2:3], 0
	s_waitcnt lgkmcnt(0)
	v_cmp_gt_i64_e32 vcc, v[2:3], v[6:7]
	v_cndmask_b32_e64 v6, 0, 1, vcc
	v_add_co_u32_e32 v4, vcc, v4, v6
	v_addc_co_u32_e32 v5, vcc, 0, v5, vcc
	s_cbranch_scc1 .LBB62_106
	s_branch .LBB62_99
.LBB62_107:
	s_endpgm
	.section	.rodata,"a",@progbits
	.p2align	6, 0x0
	.amdhsa_kernel _ZN9rocsparseL35csrgemm_symbolic_fill_block_per_rowILj1024ELj64ELj8192ELj137ELj32EllEEvT5_PKS1_S3_PKT4_S3_S6_S3_S6_S3_S6_PS1_21rocsparse_index_base_S8_S8_S8_bb
		.amdhsa_group_segment_fixed_size 0
		.amdhsa_private_segment_fixed_size 0
		.amdhsa_kernarg_size 108
		.amdhsa_user_sgpr_count 6
		.amdhsa_user_sgpr_private_segment_buffer 1
		.amdhsa_user_sgpr_dispatch_ptr 0
		.amdhsa_user_sgpr_queue_ptr 0
		.amdhsa_user_sgpr_kernarg_segment_ptr 1
		.amdhsa_user_sgpr_dispatch_id 0
		.amdhsa_user_sgpr_flat_scratch_init 0
		.amdhsa_user_sgpr_private_segment_size 0
		.amdhsa_uses_dynamic_stack 0
		.amdhsa_system_sgpr_private_segment_wavefront_offset 0
		.amdhsa_system_sgpr_workgroup_id_x 1
		.amdhsa_system_sgpr_workgroup_id_y 0
		.amdhsa_system_sgpr_workgroup_id_z 0
		.amdhsa_system_sgpr_workgroup_info 0
		.amdhsa_system_vgpr_workitem_id 0
		.amdhsa_next_free_vgpr 23
		.amdhsa_next_free_sgpr 96
		.amdhsa_reserve_vcc 1
		.amdhsa_reserve_flat_scratch 0
		.amdhsa_float_round_mode_32 0
		.amdhsa_float_round_mode_16_64 0
		.amdhsa_float_denorm_mode_32 3
		.amdhsa_float_denorm_mode_16_64 3
		.amdhsa_dx10_clamp 1
		.amdhsa_ieee_mode 1
		.amdhsa_fp16_overflow 0
		.amdhsa_exception_fp_ieee_invalid_op 0
		.amdhsa_exception_fp_denorm_src 0
		.amdhsa_exception_fp_ieee_div_zero 0
		.amdhsa_exception_fp_ieee_overflow 0
		.amdhsa_exception_fp_ieee_underflow 0
		.amdhsa_exception_fp_ieee_inexact 0
		.amdhsa_exception_int_div_zero 0
	.end_amdhsa_kernel
	.section	.text._ZN9rocsparseL35csrgemm_symbolic_fill_block_per_rowILj1024ELj64ELj8192ELj137ELj32EllEEvT5_PKS1_S3_PKT4_S3_S6_S3_S6_S3_S6_PS1_21rocsparse_index_base_S8_S8_S8_bb,"axG",@progbits,_ZN9rocsparseL35csrgemm_symbolic_fill_block_per_rowILj1024ELj64ELj8192ELj137ELj32EllEEvT5_PKS1_S3_PKT4_S3_S6_S3_S6_S3_S6_PS1_21rocsparse_index_base_S8_S8_S8_bb,comdat
.Lfunc_end62:
	.size	_ZN9rocsparseL35csrgemm_symbolic_fill_block_per_rowILj1024ELj64ELj8192ELj137ELj32EllEEvT5_PKS1_S3_PKT4_S3_S6_S3_S6_S3_S6_PS1_21rocsparse_index_base_S8_S8_S8_bb, .Lfunc_end62-_ZN9rocsparseL35csrgemm_symbolic_fill_block_per_rowILj1024ELj64ELj8192ELj137ELj32EllEEvT5_PKS1_S3_PKT4_S3_S6_S3_S6_S3_S6_PS1_21rocsparse_index_base_S8_S8_S8_bb
                                        ; -- End function
	.set _ZN9rocsparseL35csrgemm_symbolic_fill_block_per_rowILj1024ELj64ELj8192ELj137ELj32EllEEvT5_PKS1_S3_PKT4_S3_S6_S3_S6_S3_S6_PS1_21rocsparse_index_base_S8_S8_S8_bb.num_vgpr, 23
	.set _ZN9rocsparseL35csrgemm_symbolic_fill_block_per_rowILj1024ELj64ELj8192ELj137ELj32EllEEvT5_PKS1_S3_PKT4_S3_S6_S3_S6_S3_S6_PS1_21rocsparse_index_base_S8_S8_S8_bb.num_agpr, 0
	.set _ZN9rocsparseL35csrgemm_symbolic_fill_block_per_rowILj1024ELj64ELj8192ELj137ELj32EllEEvT5_PKS1_S3_PKT4_S3_S6_S3_S6_S3_S6_PS1_21rocsparse_index_base_S8_S8_S8_bb.numbered_sgpr, 96
	.set _ZN9rocsparseL35csrgemm_symbolic_fill_block_per_rowILj1024ELj64ELj8192ELj137ELj32EllEEvT5_PKS1_S3_PKT4_S3_S6_S3_S6_S3_S6_PS1_21rocsparse_index_base_S8_S8_S8_bb.num_named_barrier, 0
	.set _ZN9rocsparseL35csrgemm_symbolic_fill_block_per_rowILj1024ELj64ELj8192ELj137ELj32EllEEvT5_PKS1_S3_PKT4_S3_S6_S3_S6_S3_S6_PS1_21rocsparse_index_base_S8_S8_S8_bb.private_seg_size, 0
	.set _ZN9rocsparseL35csrgemm_symbolic_fill_block_per_rowILj1024ELj64ELj8192ELj137ELj32EllEEvT5_PKS1_S3_PKT4_S3_S6_S3_S6_S3_S6_PS1_21rocsparse_index_base_S8_S8_S8_bb.uses_vcc, 1
	.set _ZN9rocsparseL35csrgemm_symbolic_fill_block_per_rowILj1024ELj64ELj8192ELj137ELj32EllEEvT5_PKS1_S3_PKT4_S3_S6_S3_S6_S3_S6_PS1_21rocsparse_index_base_S8_S8_S8_bb.uses_flat_scratch, 0
	.set _ZN9rocsparseL35csrgemm_symbolic_fill_block_per_rowILj1024ELj64ELj8192ELj137ELj32EllEEvT5_PKS1_S3_PKT4_S3_S6_S3_S6_S3_S6_PS1_21rocsparse_index_base_S8_S8_S8_bb.has_dyn_sized_stack, 0
	.set _ZN9rocsparseL35csrgemm_symbolic_fill_block_per_rowILj1024ELj64ELj8192ELj137ELj32EllEEvT5_PKS1_S3_PKT4_S3_S6_S3_S6_S3_S6_PS1_21rocsparse_index_base_S8_S8_S8_bb.has_recursion, 0
	.set _ZN9rocsparseL35csrgemm_symbolic_fill_block_per_rowILj1024ELj64ELj8192ELj137ELj32EllEEvT5_PKS1_S3_PKT4_S3_S6_S3_S6_S3_S6_PS1_21rocsparse_index_base_S8_S8_S8_bb.has_indirect_call, 0
	.section	.AMDGPU.csdata,"",@progbits
; Kernel info:
; codeLenInByte = 4240
; TotalNumSgprs: 100
; NumVgprs: 23
; ScratchSize: 0
; MemoryBound: 0
; FloatMode: 240
; IeeeMode: 1
; LDSByteSize: 0 bytes/workgroup (compile time only)
; SGPRBlocks: 12
; VGPRBlocks: 5
; NumSGPRsForWavesPerEU: 100
; NumVGPRsForWavesPerEU: 23
; Occupancy: 8
; WaveLimiterHint : 1
; COMPUTE_PGM_RSRC2:SCRATCH_EN: 0
; COMPUTE_PGM_RSRC2:USER_SGPR: 6
; COMPUTE_PGM_RSRC2:TRAP_HANDLER: 0
; COMPUTE_PGM_RSRC2:TGID_X_EN: 1
; COMPUTE_PGM_RSRC2:TGID_Y_EN: 0
; COMPUTE_PGM_RSRC2:TGID_Z_EN: 0
; COMPUTE_PGM_RSRC2:TIDIG_COMP_CNT: 0
	.section	.text._ZN9rocsparseL35csrgemm_symbolic_fill_block_per_rowILj1024ELj64ELj8192ELj137ELj64EllEEvT5_PKS1_S3_PKT4_S3_S6_S3_S6_S3_S6_PS1_21rocsparse_index_base_S8_S8_S8_bb,"axG",@progbits,_ZN9rocsparseL35csrgemm_symbolic_fill_block_per_rowILj1024ELj64ELj8192ELj137ELj64EllEEvT5_PKS1_S3_PKT4_S3_S6_S3_S6_S3_S6_PS1_21rocsparse_index_base_S8_S8_S8_bb,comdat
	.globl	_ZN9rocsparseL35csrgemm_symbolic_fill_block_per_rowILj1024ELj64ELj8192ELj137ELj64EllEEvT5_PKS1_S3_PKT4_S3_S6_S3_S6_S3_S6_PS1_21rocsparse_index_base_S8_S8_S8_bb ; -- Begin function _ZN9rocsparseL35csrgemm_symbolic_fill_block_per_rowILj1024ELj64ELj8192ELj137ELj64EllEEvT5_PKS1_S3_PKT4_S3_S6_S3_S6_S3_S6_PS1_21rocsparse_index_base_S8_S8_S8_bb
	.p2align	8
	.type	_ZN9rocsparseL35csrgemm_symbolic_fill_block_per_rowILj1024ELj64ELj8192ELj137ELj64EllEEvT5_PKS1_S3_PKT4_S3_S6_S3_S6_S3_S6_PS1_21rocsparse_index_base_S8_S8_S8_bb,@function
_ZN9rocsparseL35csrgemm_symbolic_fill_block_per_rowILj1024ELj64ELj8192ELj137ELj64EllEEvT5_PKS1_S3_PKT4_S3_S6_S3_S6_S3_S6_PS1_21rocsparse_index_base_S8_S8_S8_bb: ; @_ZN9rocsparseL35csrgemm_symbolic_fill_block_per_rowILj1024ELj64ELj8192ELj137ELj64EllEEvT5_PKS1_S3_PKT4_S3_S6_S3_S6_S3_S6_PS1_21rocsparse_index_base_S8_S8_S8_bb
; %bb.0:
	s_load_dwordx4 s[44:47], s[4:5], 0x0
	s_load_dwordx2 s[0:1], s[4:5], 0x10
	v_lshl_add_u32 v11, v0, 3, 0
	s_mov_b32 s7, 0
	v_lshrrev_b32_e32 v12, 6, v0
	s_waitcnt lgkmcnt(0)
	v_mov_b32_e32 v1, s44
	v_mov_b32_e32 v3, s44
	;; [unrolled: 1-line block ×4, first 2 shown]
	ds_write2st64_b64 v11, v[1:2], v[3:4] offset1:16
	ds_write2st64_b64 v11, v[1:2], v[3:4] offset0:32 offset1:48
	ds_write2st64_b64 v11, v[1:2], v[3:4] offset0:64 offset1:80
	;; [unrolled: 1-line block ×3, first 2 shown]
	s_waitcnt lgkmcnt(0)
	s_barrier
	s_load_dwordx2 s[2:3], s[46:47], 0x0
	s_load_dword s28, s[4:5], 0x68
	s_load_dwordx4 s[36:39], s[4:5], 0x58
	s_waitcnt lgkmcnt(0)
	s_lshl_b64 s[2:3], s[2:3], 3
	s_add_u32 s2, s0, s2
	s_addc_u32 s3, s1, s3
	s_lshl_b64 s[0:1], s[6:7], 3
	s_add_u32 s0, s2, s0
	s_addc_u32 s1, s3, s1
	s_load_dwordx2 s[34:35], s[0:1], 0x0
	s_bitcmp0_b32 s28, 0
	s_cbranch_scc1 .LBB63_16
; %bb.1:
	s_load_dwordx2 s[0:1], s[4:5], 0x18
	s_waitcnt lgkmcnt(0)
	s_lshl_b64 s[2:3], s[34:35], 3
	v_subrev_co_u32_e32 v1, vcc, s36, v12
	s_add_u32 s6, s0, s2
	s_addc_u32 s7, s1, s3
	s_load_dwordx4 s[0:3], s[6:7], 0x0
	v_subb_co_u32_e64 v2, s[6:7], 0, 0, vcc
	s_waitcnt lgkmcnt(0)
	s_sub_u32 s6, s2, s36
	v_mov_b32_e32 v3, s1
	v_add_co_u32_e32 v1, vcc, s0, v1
	s_subb_u32 s7, s3, 0
	v_addc_co_u32_e32 v2, vcc, v3, v2, vcc
	v_cmp_gt_i64_e32 vcc, s[6:7], v[1:2]
	s_and_saveexec_b64 s[8:9], vcc
	s_cbranch_execz .LBB63_15
; %bb.2:
	s_load_dwordx4 s[0:3], s[4:5], 0x20
	s_load_dwordx2 s[10:11], s[4:5], 0x30
	v_and_b32_e32 v3, 63, v0
	v_subrev_co_u32_e32 v13, vcc, s37, v3
	v_subb_co_u32_e64 v14, s[12:13], 0, 0, vcc
	s_mov_b32 s29, s37
	s_mov_b64 s[12:13], 0
	s_waitcnt lgkmcnt(0)
	v_mov_b32_e32 v15, s1
	v_mov_b32_e32 v16, s3
	s_movk_i32 s1, 0x89
	s_branch .LBB63_4
.LBB63_3:                               ;   in Loop: Header=BB63_4 Depth=1
	s_or_b64 exec, exec, s[14:15]
	v_add_co_u32_e32 v1, vcc, 16, v1
	v_addc_co_u32_e32 v2, vcc, 0, v2, vcc
	v_cmp_le_i64_e32 vcc, s[6:7], v[1:2]
	s_or_b64 s[12:13], vcc, s[12:13]
	s_andn2_b64 exec, exec, s[12:13]
	s_cbranch_execz .LBB63_15
.LBB63_4:                               ; =>This Loop Header: Depth=1
                                        ;     Child Loop BB63_7 Depth 2
                                        ;       Child Loop BB63_10 Depth 3
	v_lshlrev_b64 v[3:4], 3, v[1:2]
	v_add_co_u32_e32 v3, vcc, s0, v3
	v_addc_co_u32_e32 v4, vcc, v15, v4, vcc
	global_load_dwordx2 v[3:4], v[3:4], off
	s_waitcnt vmcnt(0)
	v_subrev_co_u32_e32 v3, vcc, s36, v3
	v_subbrev_co_u32_e32 v4, vcc, 0, v4, vcc
	v_lshlrev_b64 v[3:4], 3, v[3:4]
	v_add_co_u32_e32 v3, vcc, s2, v3
	v_addc_co_u32_e32 v4, vcc, v16, v4, vcc
	global_load_dwordx4 v[5:8], v[3:4], off
	s_waitcnt vmcnt(0)
	v_subrev_co_u32_e32 v3, vcc, s29, v7
	v_subbrev_co_u32_e32 v4, vcc, 0, v8, vcc
	v_add_co_u32_e32 v5, vcc, v5, v13
	v_addc_co_u32_e32 v6, vcc, v6, v14, vcc
	v_cmp_lt_i64_e32 vcc, v[5:6], v[3:4]
	s_and_saveexec_b64 s[14:15], vcc
	s_cbranch_execz .LBB63_3
; %bb.5:                                ;   in Loop: Header=BB63_4 Depth=1
	s_mov_b64 s[16:17], 0
	s_branch .LBB63_7
.LBB63_6:                               ;   in Loop: Header=BB63_7 Depth=2
	s_or_b64 exec, exec, s[18:19]
	v_add_co_u32_e32 v5, vcc, 64, v5
	v_addc_co_u32_e32 v6, vcc, 0, v6, vcc
	v_cmp_ge_i64_e32 vcc, v[5:6], v[3:4]
	s_or_b64 s[16:17], vcc, s[16:17]
	s_andn2_b64 exec, exec, s[16:17]
	s_cbranch_execz .LBB63_3
.LBB63_7:                               ;   Parent Loop BB63_4 Depth=1
                                        ; =>  This Loop Header: Depth=2
                                        ;       Child Loop BB63_10 Depth 3
	v_lshlrev_b64 v[7:8], 3, v[5:6]
	v_mov_b32_e32 v9, s11
	v_add_co_u32_e32 v7, vcc, s10, v7
	v_addc_co_u32_e32 v8, vcc, v9, v8, vcc
	global_load_dwordx2 v[7:8], v[7:8], off
	s_mov_b64 s[18:19], 0
                                        ; implicit-def: $sgpr20_sgpr21
	s_waitcnt vmcnt(0)
	v_subrev_co_u32_e32 v7, vcc, s29, v7
	v_mul_lo_u32 v9, v7, s1
	v_subbrev_co_u32_e32 v8, vcc, 0, v8, vcc
	v_and_b32_e32 v17, 0x1fff, v9
	s_branch .LBB63_10
.LBB63_8:                               ;   in Loop: Header=BB63_10 Depth=3
	s_or_b64 exec, exec, s[24:25]
	s_andn2_b64 s[20:21], s[20:21], exec
	s_and_b64 s[24:25], s[26:27], exec
	s_or_b64 s[20:21], s[20:21], s[24:25]
.LBB63_9:                               ;   in Loop: Header=BB63_10 Depth=3
	s_or_b64 exec, exec, s[22:23]
	s_xor_b64 s[22:23], s[20:21], -1
	s_and_b64 s[22:23], exec, s[22:23]
	s_or_b64 s[18:19], s[22:23], s[18:19]
	s_andn2_b64 exec, exec, s[18:19]
	s_cbranch_execz .LBB63_6
.LBB63_10:                              ;   Parent Loop BB63_4 Depth=1
                                        ;     Parent Loop BB63_7 Depth=2
                                        ; =>    This Inner Loop Header: Depth=3
	v_lshl_add_u32 v18, v17, 3, 0
	ds_read_b64 v[9:10], v18
	s_andn2_b64 s[20:21], s[20:21], exec
	s_waitcnt lgkmcnt(0)
	v_cmp_ne_u64_e32 vcc, v[9:10], v[7:8]
	s_and_saveexec_b64 s[22:23], vcc
	s_cbranch_execz .LBB63_9
; %bb.11:                               ;   in Loop: Header=BB63_10 Depth=3
	v_cmp_ne_u64_e32 vcc, s[44:45], v[9:10]
	s_and_saveexec_b64 s[24:25], vcc
	s_xor_b64 s[24:25], exec, s[24:25]
; %bb.12:                               ;   in Loop: Header=BB63_10 Depth=3
	v_add_u32_e32 v9, 1, v17
	v_and_b32_e32 v17, 0x1fff, v9
                                        ; implicit-def: $vgpr18
; %bb.13:                               ;   in Loop: Header=BB63_10 Depth=3
	s_or_saveexec_b64 s[24:25], s[24:25]
	s_mov_b64 s[26:27], -1
	s_xor_b64 exec, exec, s[24:25]
	s_cbranch_execz .LBB63_8
; %bb.14:                               ;   in Loop: Header=BB63_10 Depth=3
	v_mov_b32_e32 v9, s44
	v_mov_b32_e32 v10, s45
	ds_cmpst_rtn_b64 v[9:10], v18, v[9:10], v[7:8]
	s_waitcnt lgkmcnt(0)
	v_cmp_ne_u64_e32 vcc, s[44:45], v[9:10]
	s_orn2_b64 s[26:27], vcc, exec
	s_branch .LBB63_8
.LBB63_15:
	s_or_b64 exec, exec, s[8:9]
.LBB63_16:
	s_load_dwordx4 s[40:43], s[4:5], 0x48
	s_bfe_u32 s0, s28, 0x10008
	s_cmp_eq_u32 s0, 0
	s_cbranch_scc1 .LBB63_29
; %bb.17:
	s_load_dwordx2 s[0:1], s[4:5], 0x38
	s_waitcnt lgkmcnt(0)
	s_lshl_b64 s[2:3], s[34:35], 3
	v_subrev_co_u32_e32 v1, vcc, s39, v0
	s_add_u32 s0, s0, s2
	s_addc_u32 s1, s1, s3
	s_load_dwordx4 s[8:11], s[0:1], 0x0
	v_subb_co_u32_e64 v2, s[0:1], 0, 0, vcc
	s_waitcnt lgkmcnt(0)
	s_sub_u32 s0, s10, s39
	v_mov_b32_e32 v3, s9
	v_add_co_u32_e32 v1, vcc, s8, v1
	s_subb_u32 s1, s11, 0
	v_addc_co_u32_e32 v2, vcc, v3, v2, vcc
	v_cmp_gt_i64_e32 vcc, s[0:1], v[1:2]
	s_and_saveexec_b64 s[2:3], vcc
	s_cbranch_execz .LBB63_28
; %bb.18:
	s_load_dwordx2 s[4:5], s[4:5], 0x40
	s_mov_b32 s18, s39
	s_mov_b64 s[6:7], 0
	s_waitcnt lgkmcnt(0)
	v_mov_b32_e32 v7, s5
	s_movk_i32 s5, 0x89
	s_branch .LBB63_20
.LBB63_19:                              ;   in Loop: Header=BB63_20 Depth=1
	s_or_b64 exec, exec, s[8:9]
	v_add_co_u32_e32 v1, vcc, 0x400, v1
	v_addc_co_u32_e32 v2, vcc, 0, v2, vcc
	v_cmp_le_i64_e32 vcc, s[0:1], v[1:2]
	s_or_b64 s[6:7], vcc, s[6:7]
	s_andn2_b64 exec, exec, s[6:7]
	s_cbranch_execz .LBB63_28
.LBB63_20:                              ; =>This Loop Header: Depth=1
                                        ;     Child Loop BB63_23 Depth 2
	v_lshlrev_b64 v[3:4], 3, v[1:2]
	s_mov_b64 s[8:9], 0
	v_add_co_u32_e32 v3, vcc, s4, v3
	v_addc_co_u32_e32 v4, vcc, v7, v4, vcc
	global_load_dwordx2 v[3:4], v[3:4], off
                                        ; implicit-def: $sgpr10_sgpr11
	s_waitcnt vmcnt(0)
	v_subrev_co_u32_e32 v3, vcc, s18, v3
	v_mul_lo_u32 v5, v3, s5
	v_subbrev_co_u32_e32 v4, vcc, 0, v4, vcc
	v_and_b32_e32 v8, 0x1fff, v5
	s_branch .LBB63_23
.LBB63_21:                              ;   in Loop: Header=BB63_23 Depth=2
	s_or_b64 exec, exec, s[14:15]
	s_andn2_b64 s[10:11], s[10:11], exec
	s_and_b64 s[14:15], s[16:17], exec
	s_or_b64 s[10:11], s[10:11], s[14:15]
.LBB63_22:                              ;   in Loop: Header=BB63_23 Depth=2
	s_or_b64 exec, exec, s[12:13]
	s_xor_b64 s[12:13], s[10:11], -1
	s_and_b64 s[12:13], exec, s[12:13]
	s_or_b64 s[8:9], s[12:13], s[8:9]
	s_andn2_b64 exec, exec, s[8:9]
	s_cbranch_execz .LBB63_19
.LBB63_23:                              ;   Parent Loop BB63_20 Depth=1
                                        ; =>  This Inner Loop Header: Depth=2
	v_lshl_add_u32 v9, v8, 3, 0
	ds_read_b64 v[5:6], v9
	s_andn2_b64 s[10:11], s[10:11], exec
	s_waitcnt lgkmcnt(0)
	v_cmp_ne_u64_e32 vcc, v[5:6], v[3:4]
	s_and_saveexec_b64 s[12:13], vcc
	s_cbranch_execz .LBB63_22
; %bb.24:                               ;   in Loop: Header=BB63_23 Depth=2
	v_cmp_ne_u64_e32 vcc, s[44:45], v[5:6]
	s_and_saveexec_b64 s[14:15], vcc
	s_xor_b64 s[14:15], exec, s[14:15]
; %bb.25:                               ;   in Loop: Header=BB63_23 Depth=2
	v_add_u32_e32 v5, 1, v8
	v_and_b32_e32 v8, 0x1fff, v5
                                        ; implicit-def: $vgpr9
; %bb.26:                               ;   in Loop: Header=BB63_23 Depth=2
	s_or_saveexec_b64 s[14:15], s[14:15]
	s_mov_b64 s[16:17], -1
	s_xor_b64 exec, exec, s[14:15]
	s_cbranch_execz .LBB63_21
; %bb.27:                               ;   in Loop: Header=BB63_23 Depth=2
	v_mov_b32_e32 v5, s44
	v_mov_b32_e32 v6, s45
	ds_cmpst_rtn_b64 v[5:6], v9, v[5:6], v[3:4]
	s_waitcnt lgkmcnt(0)
	v_cmp_ne_u64_e32 vcc, s[44:45], v[5:6]
	s_orn2_b64 s[16:17], vcc, exec
	s_branch .LBB63_21
.LBB63_28:
	s_or_b64 exec, exec, s[2:3]
.LBB63_29:
	v_mbcnt_lo_u32_b32 v1, -1, 0
	v_mbcnt_hi_u32_b32 v1, -1, v1
	v_sub_u32_e32 v1, 63, v1
	v_lshrrev_b64 v[3:4], v1, -1
	s_add_i32 s33, 0, 0x10000
	s_movk_i32 s0, 0x3ff
	s_movk_i32 s2, 0x7f
	s_movk_i32 s4, 0xbf
	s_movk_i32 s6, 0xff
	s_movk_i32 s8, 0x13f
	s_movk_i32 s10, 0x17f
	s_movk_i32 s12, 0x1bf
	s_movk_i32 s14, 0x1ff
	s_movk_i32 s16, 0x23f
	s_movk_i32 s18, 0x27f
	s_movk_i32 s20, 0x2bf
	s_movk_i32 s22, 0x2ff
	s_movk_i32 s24, 0x33f
	s_movk_i32 s26, 0x37f
	s_movk_i32 s28, 0x3bf
	v_mov_b32_e32 v5, 0
	v_mov_b32_e32 v2, 0
	v_lshl_add_u32 v12, v12, 3, s33
	v_cmp_eq_u32_e32 vcc, s0, v0
	v_cmp_lt_u32_e64 s[0:1], 63, v0
	v_cmp_lt_u32_e64 s[2:3], s2, v0
	;; [unrolled: 1-line block ×15, first 2 shown]
	v_or_b32_e32 v13, 0xfffffc00, v0
	s_mov_b64 s[36:37], 0
	v_mov_b32_e32 v6, 0
	s_add_i32 s39, 0, 0x10008
	s_add_i32 s48, 0, 0x10010
	s_add_i32 s49, 0, 0x10018
	s_add_i32 s50, 0, 0x10020
	s_add_i32 s51, 0, 0x10028
	s_add_i32 s52, 0, 0x10030
	s_add_i32 s53, 0, 0x10038
	s_add_i32 s54, 0, 0x10040
	s_add_i32 s55, 0, 0x10048
	s_add_i32 s56, 0, 0x10050
	s_add_i32 s57, 0, 0x10058
	s_add_i32 s58, 0, 0x10060
	s_add_i32 s59, 0, 0x10068
	s_add_i32 s60, 0, 0x10070
	s_add_i32 s61, 0, 0x10078
	s_movk_i32 s62, 0x1bff
	s_waitcnt lgkmcnt(0)
	s_barrier
	s_branch .LBB63_31
.LBB63_30:                              ;   in Loop: Header=BB63_31 Depth=1
	s_or_b64 exec, exec, s[30:31]
	v_mov_b32_e32 v1, s61
	s_waitcnt lgkmcnt(0)
	s_barrier
	ds_read_b64 v[7:8], v1
	v_add_u32_e32 v13, 0x400, v13
	v_add_u32_e32 v11, 0x2000, v11
	s_waitcnt lgkmcnt(0)
	v_add_co_u32_e64 v5, s[30:31], v7, v5
	v_addc_co_u32_e64 v6, s[30:31], v8, v6, s[30:31]
	v_cmp_lt_u32_e64 s[30:31], s62, v13
	s_or_b64 s[36:37], s[30:31], s[36:37]
	s_andn2_b64 exec, exec, s[36:37]
	s_cbranch_execz .LBB63_65
.LBB63_31:                              ; =>This Inner Loop Header: Depth=1
	ds_read_b64 v[7:8], v11
	s_waitcnt lgkmcnt(0)
	s_barrier
	v_cmp_gt_i64_e64 s[30:31], s[44:45], v[7:8]
	v_and_b32_e32 v10, s30, v3
	s_bcnt1_i32_b64 s46, s[30:31]
	v_and_b32_e32 v9, s31, v4
	v_bcnt_u32_b32 v10, v10, 0
	v_mov_b32_e32 v1, s46
	v_bcnt_u32_b32 v9, v9, v10
	ds_write_b64 v12, v[1:2]
	s_waitcnt lgkmcnt(0)
	s_barrier
	s_and_saveexec_b64 s[46:47], s[0:1]
	s_cbranch_execnz .LBB63_48
; %bb.32:                               ;   in Loop: Header=BB63_31 Depth=1
	s_or_b64 exec, exec, s[46:47]
	s_and_saveexec_b64 s[46:47], s[2:3]
	s_cbranch_execnz .LBB63_49
.LBB63_33:                              ;   in Loop: Header=BB63_31 Depth=1
	s_or_b64 exec, exec, s[46:47]
	s_and_saveexec_b64 s[46:47], s[4:5]
	s_cbranch_execnz .LBB63_50
.LBB63_34:                              ;   in Loop: Header=BB63_31 Depth=1
	s_or_b64 exec, exec, s[46:47]
	s_and_saveexec_b64 s[46:47], s[6:7]
	s_cbranch_execnz .LBB63_51
.LBB63_35:                              ;   in Loop: Header=BB63_31 Depth=1
	s_or_b64 exec, exec, s[46:47]
	s_and_saveexec_b64 s[46:47], s[8:9]
	s_cbranch_execnz .LBB63_52
.LBB63_36:                              ;   in Loop: Header=BB63_31 Depth=1
	s_or_b64 exec, exec, s[46:47]
	s_and_saveexec_b64 s[46:47], s[10:11]
	s_cbranch_execnz .LBB63_53
.LBB63_37:                              ;   in Loop: Header=BB63_31 Depth=1
	s_or_b64 exec, exec, s[46:47]
	s_and_saveexec_b64 s[46:47], s[12:13]
	s_cbranch_execnz .LBB63_54
.LBB63_38:                              ;   in Loop: Header=BB63_31 Depth=1
	s_or_b64 exec, exec, s[46:47]
	s_and_saveexec_b64 s[46:47], s[14:15]
	s_cbranch_execnz .LBB63_55
.LBB63_39:                              ;   in Loop: Header=BB63_31 Depth=1
	s_or_b64 exec, exec, s[46:47]
	s_and_saveexec_b64 s[46:47], s[16:17]
	s_cbranch_execnz .LBB63_56
.LBB63_40:                              ;   in Loop: Header=BB63_31 Depth=1
	s_or_b64 exec, exec, s[46:47]
	s_and_saveexec_b64 s[46:47], s[18:19]
	s_cbranch_execnz .LBB63_57
.LBB63_41:                              ;   in Loop: Header=BB63_31 Depth=1
	s_or_b64 exec, exec, s[46:47]
	s_and_saveexec_b64 s[46:47], s[20:21]
	s_cbranch_execnz .LBB63_58
.LBB63_42:                              ;   in Loop: Header=BB63_31 Depth=1
	s_or_b64 exec, exec, s[46:47]
	s_and_saveexec_b64 s[46:47], s[22:23]
	s_cbranch_execnz .LBB63_59
.LBB63_43:                              ;   in Loop: Header=BB63_31 Depth=1
	s_or_b64 exec, exec, s[46:47]
	s_and_saveexec_b64 s[46:47], s[24:25]
	s_cbranch_execnz .LBB63_60
.LBB63_44:                              ;   in Loop: Header=BB63_31 Depth=1
	s_or_b64 exec, exec, s[46:47]
	s_and_saveexec_b64 s[46:47], s[26:27]
	s_cbranch_execnz .LBB63_61
.LBB63_45:                              ;   in Loop: Header=BB63_31 Depth=1
	s_or_b64 exec, exec, s[46:47]
	s_and_saveexec_b64 s[46:47], s[28:29]
	s_cbranch_execnz .LBB63_62
.LBB63_46:                              ;   in Loop: Header=BB63_31 Depth=1
	s_or_b64 exec, exec, s[46:47]
	v_ashrrev_i32_e32 v10, 31, v9
	s_and_saveexec_b64 s[46:47], s[30:31]
	s_cbranch_execnz .LBB63_63
.LBB63_47:                              ;   in Loop: Header=BB63_31 Depth=1
	s_or_b64 exec, exec, s[46:47]
	s_and_saveexec_b64 s[30:31], vcc
	s_cbranch_execz .LBB63_30
	s_branch .LBB63_64
.LBB63_48:                              ;   in Loop: Header=BB63_31 Depth=1
	v_mov_b32_e32 v1, s33
	ds_read_b32 v1, v1
	s_waitcnt lgkmcnt(0)
	v_add_u32_e32 v9, v1, v9
	s_or_b64 exec, exec, s[46:47]
	s_and_saveexec_b64 s[46:47], s[2:3]
	s_cbranch_execz .LBB63_33
.LBB63_49:                              ;   in Loop: Header=BB63_31 Depth=1
	v_mov_b32_e32 v1, s39
	ds_read_b32 v1, v1
	s_waitcnt lgkmcnt(0)
	v_add_u32_e32 v9, v9, v1
	s_or_b64 exec, exec, s[46:47]
	s_and_saveexec_b64 s[46:47], s[4:5]
	s_cbranch_execz .LBB63_34
.LBB63_50:                              ;   in Loop: Header=BB63_31 Depth=1
	v_mov_b32_e32 v1, s48
	ds_read_b32 v1, v1
	s_waitcnt lgkmcnt(0)
	v_add_u32_e32 v9, v9, v1
	s_or_b64 exec, exec, s[46:47]
	s_and_saveexec_b64 s[46:47], s[6:7]
	s_cbranch_execz .LBB63_35
.LBB63_51:                              ;   in Loop: Header=BB63_31 Depth=1
	v_mov_b32_e32 v1, s49
	ds_read_b32 v1, v1
	s_waitcnt lgkmcnt(0)
	v_add_u32_e32 v9, v9, v1
	s_or_b64 exec, exec, s[46:47]
	s_and_saveexec_b64 s[46:47], s[8:9]
	s_cbranch_execz .LBB63_36
.LBB63_52:                              ;   in Loop: Header=BB63_31 Depth=1
	v_mov_b32_e32 v1, s50
	ds_read_b32 v1, v1
	s_waitcnt lgkmcnt(0)
	v_add_u32_e32 v9, v9, v1
	s_or_b64 exec, exec, s[46:47]
	s_and_saveexec_b64 s[46:47], s[10:11]
	s_cbranch_execz .LBB63_37
.LBB63_53:                              ;   in Loop: Header=BB63_31 Depth=1
	v_mov_b32_e32 v1, s51
	ds_read_b32 v1, v1
	s_waitcnt lgkmcnt(0)
	v_add_u32_e32 v9, v9, v1
	s_or_b64 exec, exec, s[46:47]
	s_and_saveexec_b64 s[46:47], s[12:13]
	s_cbranch_execz .LBB63_38
.LBB63_54:                              ;   in Loop: Header=BB63_31 Depth=1
	v_mov_b32_e32 v1, s52
	ds_read_b32 v1, v1
	s_waitcnt lgkmcnt(0)
	v_add_u32_e32 v9, v9, v1
	s_or_b64 exec, exec, s[46:47]
	s_and_saveexec_b64 s[46:47], s[14:15]
	s_cbranch_execz .LBB63_39
.LBB63_55:                              ;   in Loop: Header=BB63_31 Depth=1
	v_mov_b32_e32 v1, s53
	ds_read_b32 v1, v1
	s_waitcnt lgkmcnt(0)
	v_add_u32_e32 v9, v9, v1
	s_or_b64 exec, exec, s[46:47]
	s_and_saveexec_b64 s[46:47], s[16:17]
	s_cbranch_execz .LBB63_40
.LBB63_56:                              ;   in Loop: Header=BB63_31 Depth=1
	v_mov_b32_e32 v1, s54
	ds_read_b32 v1, v1
	s_waitcnt lgkmcnt(0)
	v_add_u32_e32 v9, v9, v1
	s_or_b64 exec, exec, s[46:47]
	s_and_saveexec_b64 s[46:47], s[18:19]
	s_cbranch_execz .LBB63_41
.LBB63_57:                              ;   in Loop: Header=BB63_31 Depth=1
	v_mov_b32_e32 v1, s55
	ds_read_b32 v1, v1
	s_waitcnt lgkmcnt(0)
	v_add_u32_e32 v9, v9, v1
	s_or_b64 exec, exec, s[46:47]
	s_and_saveexec_b64 s[46:47], s[20:21]
	s_cbranch_execz .LBB63_42
.LBB63_58:                              ;   in Loop: Header=BB63_31 Depth=1
	v_mov_b32_e32 v1, s56
	ds_read_b32 v1, v1
	s_waitcnt lgkmcnt(0)
	v_add_u32_e32 v9, v9, v1
	s_or_b64 exec, exec, s[46:47]
	s_and_saveexec_b64 s[46:47], s[22:23]
	s_cbranch_execz .LBB63_43
.LBB63_59:                              ;   in Loop: Header=BB63_31 Depth=1
	v_mov_b32_e32 v1, s57
	ds_read_b32 v1, v1
	s_waitcnt lgkmcnt(0)
	v_add_u32_e32 v9, v9, v1
	s_or_b64 exec, exec, s[46:47]
	s_and_saveexec_b64 s[46:47], s[24:25]
	s_cbranch_execz .LBB63_44
.LBB63_60:                              ;   in Loop: Header=BB63_31 Depth=1
	v_mov_b32_e32 v1, s58
	ds_read_b32 v1, v1
	s_waitcnt lgkmcnt(0)
	v_add_u32_e32 v9, v9, v1
	s_or_b64 exec, exec, s[46:47]
	s_and_saveexec_b64 s[46:47], s[26:27]
	s_cbranch_execz .LBB63_45
.LBB63_61:                              ;   in Loop: Header=BB63_31 Depth=1
	v_mov_b32_e32 v1, s59
	ds_read_b32 v1, v1
	s_waitcnt lgkmcnt(0)
	v_add_u32_e32 v9, v9, v1
	s_or_b64 exec, exec, s[46:47]
	s_and_saveexec_b64 s[46:47], s[28:29]
	s_cbranch_execz .LBB63_46
.LBB63_62:                              ;   in Loop: Header=BB63_31 Depth=1
	v_mov_b32_e32 v1, s60
	ds_read_b32 v1, v1
	s_waitcnt lgkmcnt(0)
	v_add_u32_e32 v9, v9, v1
	s_or_b64 exec, exec, s[46:47]
	v_ashrrev_i32_e32 v10, 31, v9
	s_and_saveexec_b64 s[46:47], s[30:31]
	s_cbranch_execz .LBB63_47
.LBB63_63:                              ;   in Loop: Header=BB63_31 Depth=1
	v_lshlrev_b32_e32 v1, 3, v5
	v_add_u32_e32 v1, 0, v1
	v_lshlrev_b32_e32 v14, 3, v9
	v_add3_u32 v1, v1, v14, -8
	ds_write_b64 v1, v[7:8]
	s_or_b64 exec, exec, s[46:47]
	s_and_saveexec_b64 s[30:31], vcc
	s_cbranch_execz .LBB63_30
.LBB63_64:                              ;   in Loop: Header=BB63_31 Depth=1
	v_mov_b32_e32 v1, s61
	ds_write_b64 v1, v[9:10]
	s_branch .LBB63_30
.LBB63_65:
	s_or_b64 exec, exec, s[36:37]
	s_lshl_b64 s[0:1], s[34:35], 3
	s_add_u32 s4, s40, s0
	s_addc_u32 s5, s41, s1
	s_load_dwordx4 s[0:3], s[4:5], 0x0
	v_mov_b32_e32 v1, 0
	s_waitcnt lgkmcnt(0)
	s_sub_u32 s4, s2, s0
	s_subb_u32 s5, s3, s1
	v_cmp_gt_i64_e32 vcc, s[4:5], v[0:1]
	s_and_saveexec_b64 s[6:7], vcc
	s_cbranch_execz .LBB63_75
; %bb.66:
	s_sub_u32 s8, s0, s38
	s_subb_u32 s9, s1, 0
	s_and_b32 s6, s4, 7
	s_sub_u32 s0, s0, s2
	s_subb_u32 s1, s1, s3
	v_cmp_lt_u64_e64 s[0:1], s[0:1], -7
	s_mov_b32 s7, 0
	s_and_b32 s10, s4, -8
	s_cmp_lg_u64 s[6:7], 0
	v_cndmask_b32_e64 v2, 0, 1, s[0:1]
	s_mov_b32 s11, s5
	s_mov_b64 s[12:13], 0
	s_cselect_b64 s[14:15], -1, 0
	v_cmp_ne_u32_e64 s[0:1], 1, v2
	s_branch .LBB63_68
.LBB63_67:                              ;   in Loop: Header=BB63_68 Depth=1
	s_waitcnt lgkmcnt(0)
	v_add_co_u32_e32 v2, vcc, s38, v2
	v_addc_co_u32_e32 v3, vcc, 0, v3, vcc
	v_add_co_u32_e32 v0, vcc, 0x400, v0
	v_lshlrev_b64 v[4:5], 3, v[4:5]
	v_addc_co_u32_e32 v1, vcc, 0, v1, vcc
	v_cmp_le_i64_e32 vcc, s[4:5], v[0:1]
	v_mov_b32_e32 v6, s43
	v_add_co_u32_e64 v4, s[2:3], s42, v4
	v_addc_co_u32_e64 v5, s[2:3], v6, v5, s[2:3]
	s_or_b64 s[12:13], vcc, s[12:13]
	global_store_dwordx2 v[4:5], v[2:3], off
	s_andn2_b64 exec, exec, s[12:13]
	s_cbranch_execz .LBB63_75
.LBB63_68:                              ; =>This Loop Header: Depth=1
                                        ;     Child Loop BB63_70 Depth 2
                                        ;     Child Loop BB63_74 Depth 2
	v_lshl_add_u32 v2, v0, 3, 0
	ds_read_b64 v[2:3], v2
	v_mov_b32_e32 v4, s8
	s_and_b64 vcc, exec, s[0:1]
	v_mov_b32_e32 v5, s9
	s_mov_b64 s[2:3], 0
	s_cbranch_vccnz .LBB63_72
; %bb.69:                               ;   in Loop: Header=BB63_68 Depth=1
	v_mov_b32_e32 v4, s8
	s_mov_b64 s[16:17], 0
	s_mov_b32 s18, 0
	v_mov_b32_e32 v5, s9
.LBB63_70:                              ;   Parent Loop BB63_68 Depth=1
                                        ; =>  This Inner Loop Header: Depth=2
	v_mov_b32_e32 v18, s18
	ds_read2_b64 v[6:9], v18 offset1:1
	ds_read2_b64 v[10:13], v18 offset0:2 offset1:3
	ds_read2_b64 v[14:17], v18 offset0:4 offset1:5
	ds_read2_b64 v[18:21], v18 offset0:6 offset1:7
	s_add_u32 s16, s16, 8
	s_waitcnt lgkmcnt(3)
	v_cmp_gt_i64_e32 vcc, v[2:3], v[8:9]
	v_cmp_gt_i64_e64 s[2:3], v[2:3], v[6:7]
	v_cndmask_b32_e64 v7, 0, 1, vcc
	s_waitcnt lgkmcnt(2)
	v_cmp_gt_i64_e32 vcc, v[2:3], v[10:11]
	v_cndmask_b32_e64 v6, 0, 1, s[2:3]
	v_cndmask_b32_e64 v8, 0, 1, vcc
	v_cmp_gt_i64_e32 vcc, v[2:3], v[12:13]
	s_addc_u32 s17, s17, 0
	v_cndmask_b32_e64 v9, 0, 1, vcc
	s_waitcnt lgkmcnt(1)
	v_cmp_gt_i64_e32 vcc, v[2:3], v[14:15]
	s_add_i32 s18, s18, 64
	v_cndmask_b32_e64 v10, 0, 1, vcc
	v_cmp_gt_i64_e32 vcc, v[2:3], v[16:17]
	s_cmp_eq_u64 s[10:11], s[16:17]
	v_cndmask_b32_e64 v11, 0, 1, vcc
	s_waitcnt lgkmcnt(0)
	v_cmp_gt_i64_e32 vcc, v[2:3], v[18:19]
	v_cndmask_b32_e64 v12, 0, 1, vcc
	v_cmp_gt_i64_e32 vcc, v[2:3], v[20:21]
	v_cndmask_b32_e64 v13, 0, 1, vcc
	v_add_co_u32_e32 v4, vcc, v4, v6
	v_addc_co_u32_e32 v5, vcc, 0, v5, vcc
	v_add_co_u32_e32 v4, vcc, v4, v7
	v_addc_co_u32_e32 v5, vcc, 0, v5, vcc
	;; [unrolled: 2-line block ×8, first 2 shown]
	s_cbranch_scc0 .LBB63_70
; %bb.71:                               ;   in Loop: Header=BB63_68 Depth=1
	s_mov_b64 s[2:3], s[10:11]
.LBB63_72:                              ;   in Loop: Header=BB63_68 Depth=1
	s_andn2_b64 vcc, exec, s[14:15]
	s_cbranch_vccnz .LBB63_67
; %bb.73:                               ;   in Loop: Header=BB63_68 Depth=1
	s_lshl_b32 s2, s2, 3
	s_add_i32 s16, s2, 0
	s_mov_b64 s[2:3], s[6:7]
.LBB63_74:                              ;   Parent Loop BB63_68 Depth=1
                                        ; =>  This Inner Loop Header: Depth=2
	v_mov_b32_e32 v6, s16
	ds_read_b64 v[6:7], v6
	s_add_i32 s16, s16, 8
	s_add_u32 s2, s2, -1
	s_addc_u32 s3, s3, -1
	s_cmp_lg_u64 s[2:3], 0
	s_waitcnt lgkmcnt(0)
	v_cmp_gt_i64_e32 vcc, v[2:3], v[6:7]
	v_cndmask_b32_e64 v6, 0, 1, vcc
	v_add_co_u32_e32 v4, vcc, v4, v6
	v_addc_co_u32_e32 v5, vcc, 0, v5, vcc
	s_cbranch_scc1 .LBB63_74
	s_branch .LBB63_67
.LBB63_75:
	s_endpgm
	.section	.rodata,"a",@progbits
	.p2align	6, 0x0
	.amdhsa_kernel _ZN9rocsparseL35csrgemm_symbolic_fill_block_per_rowILj1024ELj64ELj8192ELj137ELj64EllEEvT5_PKS1_S3_PKT4_S3_S6_S3_S6_S3_S6_PS1_21rocsparse_index_base_S8_S8_S8_bb
		.amdhsa_group_segment_fixed_size 0
		.amdhsa_private_segment_fixed_size 0
		.amdhsa_kernarg_size 108
		.amdhsa_user_sgpr_count 6
		.amdhsa_user_sgpr_private_segment_buffer 1
		.amdhsa_user_sgpr_dispatch_ptr 0
		.amdhsa_user_sgpr_queue_ptr 0
		.amdhsa_user_sgpr_kernarg_segment_ptr 1
		.amdhsa_user_sgpr_dispatch_id 0
		.amdhsa_user_sgpr_flat_scratch_init 0
		.amdhsa_user_sgpr_private_segment_size 0
		.amdhsa_uses_dynamic_stack 0
		.amdhsa_system_sgpr_private_segment_wavefront_offset 0
		.amdhsa_system_sgpr_workgroup_id_x 1
		.amdhsa_system_sgpr_workgroup_id_y 0
		.amdhsa_system_sgpr_workgroup_id_z 0
		.amdhsa_system_sgpr_workgroup_info 0
		.amdhsa_system_vgpr_workitem_id 0
		.amdhsa_next_free_vgpr 22
		.amdhsa_next_free_sgpr 63
		.amdhsa_reserve_vcc 1
		.amdhsa_reserve_flat_scratch 0
		.amdhsa_float_round_mode_32 0
		.amdhsa_float_round_mode_16_64 0
		.amdhsa_float_denorm_mode_32 3
		.amdhsa_float_denorm_mode_16_64 3
		.amdhsa_dx10_clamp 1
		.amdhsa_ieee_mode 1
		.amdhsa_fp16_overflow 0
		.amdhsa_exception_fp_ieee_invalid_op 0
		.amdhsa_exception_fp_denorm_src 0
		.amdhsa_exception_fp_ieee_div_zero 0
		.amdhsa_exception_fp_ieee_overflow 0
		.amdhsa_exception_fp_ieee_underflow 0
		.amdhsa_exception_fp_ieee_inexact 0
		.amdhsa_exception_int_div_zero 0
	.end_amdhsa_kernel
	.section	.text._ZN9rocsparseL35csrgemm_symbolic_fill_block_per_rowILj1024ELj64ELj8192ELj137ELj64EllEEvT5_PKS1_S3_PKT4_S3_S6_S3_S6_S3_S6_PS1_21rocsparse_index_base_S8_S8_S8_bb,"axG",@progbits,_ZN9rocsparseL35csrgemm_symbolic_fill_block_per_rowILj1024ELj64ELj8192ELj137ELj64EllEEvT5_PKS1_S3_PKT4_S3_S6_S3_S6_S3_S6_PS1_21rocsparse_index_base_S8_S8_S8_bb,comdat
.Lfunc_end63:
	.size	_ZN9rocsparseL35csrgemm_symbolic_fill_block_per_rowILj1024ELj64ELj8192ELj137ELj64EllEEvT5_PKS1_S3_PKT4_S3_S6_S3_S6_S3_S6_PS1_21rocsparse_index_base_S8_S8_S8_bb, .Lfunc_end63-_ZN9rocsparseL35csrgemm_symbolic_fill_block_per_rowILj1024ELj64ELj8192ELj137ELj64EllEEvT5_PKS1_S3_PKT4_S3_S6_S3_S6_S3_S6_PS1_21rocsparse_index_base_S8_S8_S8_bb
                                        ; -- End function
	.set _ZN9rocsparseL35csrgemm_symbolic_fill_block_per_rowILj1024ELj64ELj8192ELj137ELj64EllEEvT5_PKS1_S3_PKT4_S3_S6_S3_S6_S3_S6_PS1_21rocsparse_index_base_S8_S8_S8_bb.num_vgpr, 22
	.set _ZN9rocsparseL35csrgemm_symbolic_fill_block_per_rowILj1024ELj64ELj8192ELj137ELj64EllEEvT5_PKS1_S3_PKT4_S3_S6_S3_S6_S3_S6_PS1_21rocsparse_index_base_S8_S8_S8_bb.num_agpr, 0
	.set _ZN9rocsparseL35csrgemm_symbolic_fill_block_per_rowILj1024ELj64ELj8192ELj137ELj64EllEEvT5_PKS1_S3_PKT4_S3_S6_S3_S6_S3_S6_PS1_21rocsparse_index_base_S8_S8_S8_bb.numbered_sgpr, 63
	.set _ZN9rocsparseL35csrgemm_symbolic_fill_block_per_rowILj1024ELj64ELj8192ELj137ELj64EllEEvT5_PKS1_S3_PKT4_S3_S6_S3_S6_S3_S6_PS1_21rocsparse_index_base_S8_S8_S8_bb.num_named_barrier, 0
	.set _ZN9rocsparseL35csrgemm_symbolic_fill_block_per_rowILj1024ELj64ELj8192ELj137ELj64EllEEvT5_PKS1_S3_PKT4_S3_S6_S3_S6_S3_S6_PS1_21rocsparse_index_base_S8_S8_S8_bb.private_seg_size, 0
	.set _ZN9rocsparseL35csrgemm_symbolic_fill_block_per_rowILj1024ELj64ELj8192ELj137ELj64EllEEvT5_PKS1_S3_PKT4_S3_S6_S3_S6_S3_S6_PS1_21rocsparse_index_base_S8_S8_S8_bb.uses_vcc, 1
	.set _ZN9rocsparseL35csrgemm_symbolic_fill_block_per_rowILj1024ELj64ELj8192ELj137ELj64EllEEvT5_PKS1_S3_PKT4_S3_S6_S3_S6_S3_S6_PS1_21rocsparse_index_base_S8_S8_S8_bb.uses_flat_scratch, 0
	.set _ZN9rocsparseL35csrgemm_symbolic_fill_block_per_rowILj1024ELj64ELj8192ELj137ELj64EllEEvT5_PKS1_S3_PKT4_S3_S6_S3_S6_S3_S6_PS1_21rocsparse_index_base_S8_S8_S8_bb.has_dyn_sized_stack, 0
	.set _ZN9rocsparseL35csrgemm_symbolic_fill_block_per_rowILj1024ELj64ELj8192ELj137ELj64EllEEvT5_PKS1_S3_PKT4_S3_S6_S3_S6_S3_S6_PS1_21rocsparse_index_base_S8_S8_S8_bb.has_recursion, 0
	.set _ZN9rocsparseL35csrgemm_symbolic_fill_block_per_rowILj1024ELj64ELj8192ELj137ELj64EllEEvT5_PKS1_S3_PKT4_S3_S6_S3_S6_S3_S6_PS1_21rocsparse_index_base_S8_S8_S8_bb.has_indirect_call, 0
	.section	.AMDGPU.csdata,"",@progbits
; Kernel info:
; codeLenInByte = 2916
; TotalNumSgprs: 67
; NumVgprs: 22
; ScratchSize: 0
; MemoryBound: 0
; FloatMode: 240
; IeeeMode: 1
; LDSByteSize: 0 bytes/workgroup (compile time only)
; SGPRBlocks: 8
; VGPRBlocks: 5
; NumSGPRsForWavesPerEU: 67
; NumVGPRsForWavesPerEU: 22
; Occupancy: 10
; WaveLimiterHint : 1
; COMPUTE_PGM_RSRC2:SCRATCH_EN: 0
; COMPUTE_PGM_RSRC2:USER_SGPR: 6
; COMPUTE_PGM_RSRC2:TRAP_HANDLER: 0
; COMPUTE_PGM_RSRC2:TGID_X_EN: 1
; COMPUTE_PGM_RSRC2:TGID_Y_EN: 0
; COMPUTE_PGM_RSRC2:TGID_Z_EN: 0
; COMPUTE_PGM_RSRC2:TIDIG_COMP_CNT: 0
	.section	.text._ZN9rocsparseL35csrgemm_symbolic_fill_block_per_rowILj1024ELj64ELj16384ELj137ELj32EllEEvT5_PKS1_S3_PKT4_S3_S6_S3_S6_S3_S6_PS1_21rocsparse_index_base_S8_S8_S8_bb,"axG",@progbits,_ZN9rocsparseL35csrgemm_symbolic_fill_block_per_rowILj1024ELj64ELj16384ELj137ELj32EllEEvT5_PKS1_S3_PKT4_S3_S6_S3_S6_S3_S6_PS1_21rocsparse_index_base_S8_S8_S8_bb,comdat
	.globl	_ZN9rocsparseL35csrgemm_symbolic_fill_block_per_rowILj1024ELj64ELj16384ELj137ELj32EllEEvT5_PKS1_S3_PKT4_S3_S6_S3_S6_S3_S6_PS1_21rocsparse_index_base_S8_S8_S8_bb ; -- Begin function _ZN9rocsparseL35csrgemm_symbolic_fill_block_per_rowILj1024ELj64ELj16384ELj137ELj32EllEEvT5_PKS1_S3_PKT4_S3_S6_S3_S6_S3_S6_PS1_21rocsparse_index_base_S8_S8_S8_bb
	.p2align	8
	.type	_ZN9rocsparseL35csrgemm_symbolic_fill_block_per_rowILj1024ELj64ELj16384ELj137ELj32EllEEvT5_PKS1_S3_PKT4_S3_S6_S3_S6_S3_S6_PS1_21rocsparse_index_base_S8_S8_S8_bb,@function
_ZN9rocsparseL35csrgemm_symbolic_fill_block_per_rowILj1024ELj64ELj16384ELj137ELj32EllEEvT5_PKS1_S3_PKT4_S3_S6_S3_S6_S3_S6_PS1_21rocsparse_index_base_S8_S8_S8_bb: ; @_ZN9rocsparseL35csrgemm_symbolic_fill_block_per_rowILj1024ELj64ELj16384ELj137ELj32EllEEvT5_PKS1_S3_PKT4_S3_S6_S3_S6_S3_S6_PS1_21rocsparse_index_base_S8_S8_S8_bb
; %bb.0:
	s_load_dwordx2 s[0:1], s[4:5], 0x50
                                        ; implicit-def: $vgpr22 : SGPR spill to VGPR lane
	s_load_dwordx8 s[68:75], s[4:5], 0x0
	s_load_dwordx8 s[8:15], s[4:5], 0x20
	v_or_b32_e32 v11, 0xfffffc00, v0
	v_lshl_add_u32 v12, v0, 3, 0
	v_mov_b32_e32 v3, v12
	s_waitcnt lgkmcnt(0)
	v_writelane_b32 v22, s0, 0
	v_writelane_b32 v22, s1, 1
	s_load_dwordx4 s[0:3], s[4:5], 0x40
	v_mov_b32_e32 v1, s68
	v_mov_b32_e32 v2, s69
	;; [unrolled: 1-line block ×3, first 2 shown]
	s_waitcnt lgkmcnt(0)
	v_writelane_b32 v22, s0, 2
	v_writelane_b32 v22, s1, 3
	;; [unrolled: 1-line block ×4, first 2 shown]
	s_mov_b64 s[0:1], 0
	s_movk_i32 s2, 0x3bff
.LBB64_1:                               ; =>This Inner Loop Header: Depth=1
	v_add_u32_e32 v4, 0x400, v4
	v_cmp_lt_u32_e32 vcc, s2, v4
	ds_write_b64 v3, v[1:2]
	s_or_b64 s[0:1], vcc, s[0:1]
	v_add_u32_e32 v3, 0x2000, v3
	s_andn2_b64 exec, exec, s[0:1]
	s_cbranch_execnz .LBB64_1
; %bb.2:
	s_or_b64 exec, exec, s[0:1]
	s_load_dword s28, s[4:5], 0x68
	s_waitcnt lgkmcnt(0)
	s_barrier
	s_load_dwordx2 s[0:1], s[70:71], 0x0
	s_load_dwordx4 s[36:39], s[4:5], 0x58
	s_bitcmp1_b32 s28, 0
	s_cselect_b64 s[2:3], -1, 0
	s_mov_b32 s7, 0
	s_waitcnt lgkmcnt(0)
	s_lshl_b64 s[0:1], s[0:1], 3
	s_add_u32 s4, s72, s0
	s_addc_u32 s5, s73, s1
	s_lshl_b64 s[0:1], s[6:7], 3
	s_add_u32 s0, s4, s0
	s_addc_u32 s1, s5, s1
	s_load_dwordx2 s[30:31], s[0:1], 0x0
	s_and_b64 vcc, exec, s[2:3]
	s_cbranch_vccz .LBB64_18
; %bb.3:
	s_waitcnt lgkmcnt(0)
	s_lshl_b64 s[0:1], s[30:31], 3
	s_add_u32 s0, s74, s0
	s_addc_u32 s1, s75, s1
	s_load_dwordx4 s[4:7], s[0:1], 0x0
	v_lshrrev_b32_e32 v1, 6, v0
	v_subrev_co_u32_e32 v1, vcc, s36, v1
	v_subb_co_u32_e64 v2, s[2:3], 0, 0, vcc
	s_waitcnt lgkmcnt(0)
	s_sub_u32 s0, s6, s36
	v_mov_b32_e32 v3, s5
	v_add_co_u32_e32 v1, vcc, s4, v1
	s_subb_u32 s1, s7, 0
	v_addc_co_u32_e32 v2, vcc, v3, v2, vcc
	v_cmp_gt_i64_e32 vcc, s[0:1], v[1:2]
	s_and_saveexec_b64 s[2:3], vcc
	s_cbranch_execz .LBB64_17
; %bb.4:
	v_and_b32_e32 v3, 63, v0
	v_subrev_co_u32_e32 v13, vcc, s37, v3
	v_subb_co_u32_e64 v14, s[4:5], 0, 0, vcc
	s_mov_b32 s29, s37
	s_mov_b64 s[4:5], 0
	v_mov_b32_e32 v15, s9
	v_mov_b32_e32 v16, s11
	s_movk_i32 s9, 0x89
	s_branch .LBB64_6
.LBB64_5:                               ;   in Loop: Header=BB64_6 Depth=1
	s_or_b64 exec, exec, s[6:7]
	v_add_co_u32_e32 v1, vcc, 16, v1
	v_addc_co_u32_e32 v2, vcc, 0, v2, vcc
	v_cmp_le_i64_e32 vcc, s[0:1], v[1:2]
	s_or_b64 s[4:5], vcc, s[4:5]
	s_andn2_b64 exec, exec, s[4:5]
	s_cbranch_execz .LBB64_17
.LBB64_6:                               ; =>This Loop Header: Depth=1
                                        ;     Child Loop BB64_9 Depth 2
                                        ;       Child Loop BB64_12 Depth 3
	v_lshlrev_b64 v[3:4], 3, v[1:2]
	v_add_co_u32_e32 v3, vcc, s8, v3
	v_addc_co_u32_e32 v4, vcc, v15, v4, vcc
	global_load_dwordx2 v[3:4], v[3:4], off
	s_waitcnt vmcnt(0)
	v_subrev_co_u32_e32 v3, vcc, s36, v3
	v_subbrev_co_u32_e32 v4, vcc, 0, v4, vcc
	v_lshlrev_b64 v[3:4], 3, v[3:4]
	v_add_co_u32_e32 v3, vcc, s10, v3
	v_addc_co_u32_e32 v4, vcc, v16, v4, vcc
	global_load_dwordx4 v[5:8], v[3:4], off
	s_waitcnt vmcnt(0)
	v_subrev_co_u32_e32 v3, vcc, s29, v7
	v_subbrev_co_u32_e32 v4, vcc, 0, v8, vcc
	v_add_co_u32_e32 v5, vcc, v5, v13
	v_addc_co_u32_e32 v6, vcc, v6, v14, vcc
	v_cmp_lt_i64_e32 vcc, v[5:6], v[3:4]
	s_and_saveexec_b64 s[6:7], vcc
	s_cbranch_execz .LBB64_5
; %bb.7:                                ;   in Loop: Header=BB64_6 Depth=1
	s_mov_b64 s[16:17], 0
	s_branch .LBB64_9
.LBB64_8:                               ;   in Loop: Header=BB64_9 Depth=2
	s_or_b64 exec, exec, s[18:19]
	v_add_co_u32_e32 v5, vcc, 64, v5
	v_addc_co_u32_e32 v6, vcc, 0, v6, vcc
	v_cmp_ge_i64_e32 vcc, v[5:6], v[3:4]
	s_or_b64 s[16:17], vcc, s[16:17]
	s_andn2_b64 exec, exec, s[16:17]
	s_cbranch_execz .LBB64_5
.LBB64_9:                               ;   Parent Loop BB64_6 Depth=1
                                        ; =>  This Loop Header: Depth=2
                                        ;       Child Loop BB64_12 Depth 3
	v_lshlrev_b64 v[7:8], 3, v[5:6]
	v_mov_b32_e32 v9, s13
	v_add_co_u32_e32 v7, vcc, s12, v7
	v_addc_co_u32_e32 v8, vcc, v9, v8, vcc
	global_load_dwordx2 v[7:8], v[7:8], off
	s_mov_b64 s[18:19], 0
                                        ; implicit-def: $sgpr20_sgpr21
	s_waitcnt vmcnt(0)
	v_subrev_co_u32_e32 v7, vcc, s29, v7
	v_mul_lo_u32 v9, v7, s9
	v_subbrev_co_u32_e32 v8, vcc, 0, v8, vcc
	v_and_b32_e32 v17, 0x3fff, v9
	s_branch .LBB64_12
.LBB64_10:                              ;   in Loop: Header=BB64_12 Depth=3
	s_or_b64 exec, exec, s[24:25]
	s_andn2_b64 s[20:21], s[20:21], exec
	s_and_b64 s[24:25], s[26:27], exec
	s_or_b64 s[20:21], s[20:21], s[24:25]
.LBB64_11:                              ;   in Loop: Header=BB64_12 Depth=3
	s_or_b64 exec, exec, s[22:23]
	s_xor_b64 s[22:23], s[20:21], -1
	s_and_b64 s[22:23], exec, s[22:23]
	s_or_b64 s[18:19], s[22:23], s[18:19]
	s_andn2_b64 exec, exec, s[18:19]
	s_cbranch_execz .LBB64_8
.LBB64_12:                              ;   Parent Loop BB64_6 Depth=1
                                        ;     Parent Loop BB64_9 Depth=2
                                        ; =>    This Inner Loop Header: Depth=3
	v_lshl_add_u32 v18, v17, 3, 0
	ds_read_b64 v[9:10], v18
	s_andn2_b64 s[20:21], s[20:21], exec
	s_waitcnt lgkmcnt(0)
	v_cmp_ne_u64_e32 vcc, v[9:10], v[7:8]
	s_and_saveexec_b64 s[22:23], vcc
	s_cbranch_execz .LBB64_11
; %bb.13:                               ;   in Loop: Header=BB64_12 Depth=3
	v_cmp_ne_u64_e32 vcc, s[68:69], v[9:10]
	s_and_saveexec_b64 s[24:25], vcc
	s_xor_b64 s[24:25], exec, s[24:25]
; %bb.14:                               ;   in Loop: Header=BB64_12 Depth=3
	v_add_u32_e32 v9, 1, v17
	v_and_b32_e32 v17, 0x3fff, v9
                                        ; implicit-def: $vgpr18
; %bb.15:                               ;   in Loop: Header=BB64_12 Depth=3
	s_or_saveexec_b64 s[24:25], s[24:25]
	s_mov_b64 s[26:27], -1
	s_xor_b64 exec, exec, s[24:25]
	s_cbranch_execz .LBB64_10
; %bb.16:                               ;   in Loop: Header=BB64_12 Depth=3
	v_mov_b32_e32 v9, s68
	v_mov_b32_e32 v10, s69
	ds_cmpst_rtn_b64 v[9:10], v18, v[9:10], v[7:8]
	s_waitcnt lgkmcnt(0)
	v_cmp_ne_u64_e32 vcc, s[68:69], v[9:10]
	s_orn2_b64 s[26:27], vcc, exec
	s_branch .LBB64_10
.LBB64_17:
	s_or_b64 exec, exec, s[2:3]
.LBB64_18:
	s_bfe_u32 s0, s28, 0x10008
	s_cmp_eq_u32 s0, 0
	s_cbranch_scc1 .LBB64_31
; %bb.19:
	s_waitcnt lgkmcnt(0)
	s_lshl_b64 s[0:1], s[30:31], 3
	s_add_u32 s0, s14, s0
	s_addc_u32 s1, s15, s1
	s_load_dwordx4 s[4:7], s[0:1], 0x0
	v_subrev_co_u32_e32 v1, vcc, s39, v0
	v_subb_co_u32_e64 v2, s[0:1], 0, 0, vcc
	s_waitcnt lgkmcnt(0)
	s_sub_u32 s0, s6, s39
	v_mov_b32_e32 v3, s5
	v_add_co_u32_e32 v1, vcc, s4, v1
	s_subb_u32 s1, s7, 0
	v_addc_co_u32_e32 v2, vcc, v3, v2, vcc
	v_cmp_gt_i64_e32 vcc, s[0:1], v[1:2]
	s_and_saveexec_b64 s[2:3], vcc
	s_cbranch_execz .LBB64_30
; %bb.20:
	v_readlane_b32 s8, v22, 2
	v_readlane_b32 s9, v22, 3
	s_mov_b32 s16, s39
	s_mov_b64 s[4:5], 0
	v_mov_b32_e32 v7, s9
	s_movk_i32 s17, 0x89
	v_readlane_b32 s10, v22, 4
	v_readlane_b32 s11, v22, 5
	s_branch .LBB64_22
.LBB64_21:                              ;   in Loop: Header=BB64_22 Depth=1
	s_or_b64 exec, exec, s[6:7]
	v_add_co_u32_e32 v1, vcc, 0x400, v1
	v_addc_co_u32_e32 v2, vcc, 0, v2, vcc
	v_cmp_le_i64_e32 vcc, s[0:1], v[1:2]
	s_or_b64 s[4:5], vcc, s[4:5]
	s_andn2_b64 exec, exec, s[4:5]
	s_cbranch_execz .LBB64_30
.LBB64_22:                              ; =>This Loop Header: Depth=1
                                        ;     Child Loop BB64_25 Depth 2
	v_lshlrev_b64 v[3:4], 3, v[1:2]
	v_readlane_b32 s8, v22, 2
	v_add_co_u32_e32 v3, vcc, s8, v3
	v_addc_co_u32_e32 v4, vcc, v7, v4, vcc
	global_load_dwordx2 v[3:4], v[3:4], off
	v_readlane_b32 s9, v22, 3
	s_mov_b64 s[6:7], 0
	v_readlane_b32 s10, v22, 4
	v_readlane_b32 s11, v22, 5
                                        ; implicit-def: $sgpr8_sgpr9
	s_waitcnt vmcnt(0)
	v_subrev_co_u32_e32 v3, vcc, s16, v3
	v_mul_lo_u32 v5, v3, s17
	v_subbrev_co_u32_e32 v4, vcc, 0, v4, vcc
	v_and_b32_e32 v8, 0x3fff, v5
	s_branch .LBB64_25
.LBB64_23:                              ;   in Loop: Header=BB64_25 Depth=2
	s_or_b64 exec, exec, s[12:13]
	s_andn2_b64 s[8:9], s[8:9], exec
	s_and_b64 s[12:13], s[14:15], exec
	s_or_b64 s[8:9], s[8:9], s[12:13]
.LBB64_24:                              ;   in Loop: Header=BB64_25 Depth=2
	s_or_b64 exec, exec, s[10:11]
	s_xor_b64 s[10:11], s[8:9], -1
	s_and_b64 s[10:11], exec, s[10:11]
	s_or_b64 s[6:7], s[10:11], s[6:7]
	s_andn2_b64 exec, exec, s[6:7]
	s_cbranch_execz .LBB64_21
.LBB64_25:                              ;   Parent Loop BB64_22 Depth=1
                                        ; =>  This Inner Loop Header: Depth=2
	v_lshl_add_u32 v9, v8, 3, 0
	ds_read_b64 v[5:6], v9
	s_andn2_b64 s[8:9], s[8:9], exec
	s_waitcnt lgkmcnt(0)
	v_cmp_ne_u64_e32 vcc, v[5:6], v[3:4]
	s_and_saveexec_b64 s[10:11], vcc
	s_cbranch_execz .LBB64_24
; %bb.26:                               ;   in Loop: Header=BB64_25 Depth=2
	v_cmp_ne_u64_e32 vcc, s[68:69], v[5:6]
	s_and_saveexec_b64 s[12:13], vcc
	s_xor_b64 s[12:13], exec, s[12:13]
; %bb.27:                               ;   in Loop: Header=BB64_25 Depth=2
	v_add_u32_e32 v5, 1, v8
	v_and_b32_e32 v8, 0x3fff, v5
                                        ; implicit-def: $vgpr9
; %bb.28:                               ;   in Loop: Header=BB64_25 Depth=2
	s_or_saveexec_b64 s[12:13], s[12:13]
	s_mov_b64 s[14:15], -1
	s_xor_b64 exec, exec, s[12:13]
	s_cbranch_execz .LBB64_23
; %bb.29:                               ;   in Loop: Header=BB64_25 Depth=2
	v_mov_b32_e32 v5, s68
	v_mov_b32_e32 v6, s69
	ds_cmpst_rtn_b64 v[5:6], v9, v[5:6], v[3:4]
	s_waitcnt lgkmcnt(0)
	v_cmp_ne_u64_e32 vcc, s[68:69], v[5:6]
	s_orn2_b64 s[14:15], vcc, exec
	s_branch .LBB64_23
.LBB64_30:
	s_or_b64 exec, exec, s[2:3]
.LBB64_31:
	s_waitcnt lgkmcnt(0)
	v_writelane_b32 v22, s30, 6
	v_writelane_b32 v22, s31, 7
	;; [unrolled: 1-line block ×4, first 2 shown]
	s_movk_i32 s33, 0x25f
	v_writelane_b32 v22, s38, 10
	v_cmp_lt_u32_e64 s[34:35], s33, v0
	s_movk_i32 s33, 0x27f
	v_writelane_b32 v22, s39, 11
	v_cmp_lt_u32_e64 s[36:37], s33, v0
	s_movk_i32 s33, 0x29f
	v_cmp_lt_u32_e64 s[38:39], s33, v0
	s_movk_i32 s33, 0x2bf
	;; [unrolled: 2-line block ×10, first 2 shown]
	s_add_i32 s0, 0, 0x20000
	v_cmp_lt_u32_e64 s[56:57], s33, v0
	s_movk_i32 s33, 0x3df
	v_writelane_b32 v22, s0, 12
	v_cmp_lt_u32_e64 s[58:59], s33, v0
	s_add_i32 s33, 0, 0x20008
	v_mbcnt_lo_u32_b32 v1, -1, 0
	v_writelane_b32 v22, s33, 13
	s_add_i32 s33, 0, 0x20010
	v_mbcnt_hi_u32_b32 v1, -1, v1
	v_writelane_b32 v22, s33, 14
	s_add_i32 s33, 0, 0x20018
	v_sub_u32_e32 v1, 63, v1
	v_writelane_b32 v22, s33, 15
	s_add_i32 s33, 0, 0x20020
	v_lshrrev_b64 v[3:4], v1, -1
	v_lshrrev_b32_e32 v1, 2, v0
	v_writelane_b32 v22, s33, 16
	s_add_i32 s33, 0, 0x20028
	v_and_b32_e32 v1, 0xf8, v1
	v_writelane_b32 v22, s33, 17
	s_add_i32 s33, 0, 0x20030
	v_add_u32_e32 v13, s0, v1
	s_movk_i32 s0, 0x3ff
	v_writelane_b32 v22, s33, 18
	s_add_i32 s33, 0, 0x20038
	v_cmp_eq_u32_e32 vcc, s0, v0
	s_movk_i32 s0, 0x5f
	s_movk_i32 s2, 0x7f
	;; [unrolled: 1-line block ×16, first 2 shown]
	v_mov_b32_e32 v5, 0
	v_writelane_b32 v22, s33, 19
	s_add_i32 s33, 0, 0x20048
	v_mov_b32_e32 v2, 0
	v_cmp_lt_u32_e64 s[0:1], s0, v0
	v_cmp_lt_u32_e64 s[2:3], s2, v0
	v_cmp_lt_u32_e64 s[4:5], s4, v0
	v_cmp_lt_u32_e64 s[6:7], s6, v0
	v_cmp_lt_u32_e64 s[8:9], s8, v0
	v_cmp_lt_u32_e64 s[10:11], s10, v0
	v_cmp_lt_u32_e64 s[12:13], s12, v0
	v_cmp_lt_u32_e64 s[14:15], s14, v0
	v_cmp_lt_u32_e64 s[16:17], s16, v0
	v_cmp_lt_u32_e64 s[18:19], s18, v0
	v_cmp_lt_u32_e64 s[20:21], s20, v0
	v_cmp_lt_u32_e64 s[22:23], s22, v0
	v_cmp_lt_u32_e64 s[24:25], s24, v0
	v_cmp_lt_u32_e64 s[26:27], s26, v0
	v_cmp_lt_u32_e64 s[28:29], s28, v0
	v_cmp_lt_u32_e64 s[30:31], s30, v0
	v_mov_b32_e32 v6, 0
	s_add_i32 s85, 0, 0x20040
	v_writelane_b32 v22, s33, 20
	s_add_i32 s88, 0, 0x20050
	s_add_i32 s89, 0, 0x20058
	s_add_i32 s90, 0, 0x20060
	s_add_i32 s91, 0, 0x20068
	s_add_i32 s92, 0, 0x20070
	s_add_i32 s93, 0, 0x20078
	s_add_i32 s94, 0, 0x20080
	s_add_i32 s95, 0, 0x20088
	s_add_i32 s70, 0, 0x20090
	s_add_i32 s71, 0, 0x20098
	s_add_i32 s78, 0, 0x200a0
	s_add_i32 s79, 0, 0x200a8
	s_add_i32 s66, 0, 0x200b0
	s_add_i32 s80, 0, 0x200b8
	s_add_i32 s81, 0, 0x200c0
	s_add_i32 s33, 0, 0x200c8
	s_add_i32 s67, 0, 0x200d0
	s_add_i32 s76, 0, 0x200d8
	s_add_i32 s77, 0, 0x200e0
	s_add_i32 s82, 0, 0x200e8
	s_add_i32 s83, 0, 0x200f0
	s_add_i32 s84, 0, 0x200f8
	v_cmp_lt_u32_e64 s[60:61], 31, v0
	v_cmp_lt_u32_e64 s[62:63], 63, v0
	s_mov_b64 s[72:73], 0
	s_barrier
	s_branch .LBB64_33
.LBB64_32:                              ;   in Loop: Header=BB64_33 Depth=1
	s_or_b64 exec, exec, s[64:65]
	v_mov_b32_e32 v1, s84
	s_waitcnt lgkmcnt(0)
	s_barrier
	ds_read_b64 v[7:8], v1
	v_add_u32_e32 v11, 0x400, v11
	v_add_u32_e32 v12, 0x2000, v12
	s_waitcnt lgkmcnt(0)
	v_add_co_u32_e64 v5, s[64:65], v7, v5
	v_addc_co_u32_e64 v6, s[64:65], v8, v6, s[64:65]
	s_movk_i32 s64, 0x3bff
	v_cmp_lt_u32_e64 s[64:65], s64, v11
	s_or_b64 s[72:73], s[64:65], s[72:73]
	s_andn2_b64 exec, exec, s[72:73]
	s_cbranch_execz .LBB64_99
.LBB64_33:                              ; =>This Inner Loop Header: Depth=1
	ds_read_b64 v[7:8], v12
	s_waitcnt lgkmcnt(0)
	s_barrier
	v_cmp_gt_i64_e64 s[64:65], s[68:69], v[7:8]
	v_and_b32_e32 v10, s64, v3
	s_bcnt1_i32_b64 s74, s[64:65]
	v_and_b32_e32 v9, s65, v4
	v_bcnt_u32_b32 v10, v10, 0
	v_mov_b32_e32 v1, s74
	v_bcnt_u32_b32 v9, v9, v10
	ds_write_b64 v13, v[1:2]
	s_waitcnt lgkmcnt(0)
	s_barrier
	s_and_saveexec_b64 s[74:75], s[60:61]
	s_cbranch_execnz .LBB64_66
; %bb.34:                               ;   in Loop: Header=BB64_33 Depth=1
	s_or_b64 exec, exec, s[74:75]
	s_and_saveexec_b64 s[74:75], s[62:63]
	s_cbranch_execnz .LBB64_67
.LBB64_35:                              ;   in Loop: Header=BB64_33 Depth=1
	s_or_b64 exec, exec, s[74:75]
	s_and_saveexec_b64 s[74:75], s[0:1]
	s_cbranch_execnz .LBB64_68
.LBB64_36:                              ;   in Loop: Header=BB64_33 Depth=1
	s_or_b64 exec, exec, s[74:75]
	s_and_saveexec_b64 s[74:75], s[2:3]
	s_cbranch_execnz .LBB64_69
.LBB64_37:                              ;   in Loop: Header=BB64_33 Depth=1
	s_or_b64 exec, exec, s[74:75]
	s_and_saveexec_b64 s[74:75], s[4:5]
	s_cbranch_execnz .LBB64_70
.LBB64_38:                              ;   in Loop: Header=BB64_33 Depth=1
	s_or_b64 exec, exec, s[74:75]
	s_and_saveexec_b64 s[74:75], s[6:7]
	s_cbranch_execnz .LBB64_71
.LBB64_39:                              ;   in Loop: Header=BB64_33 Depth=1
	s_or_b64 exec, exec, s[74:75]
	s_and_saveexec_b64 s[74:75], s[8:9]
	s_cbranch_execnz .LBB64_72
.LBB64_40:                              ;   in Loop: Header=BB64_33 Depth=1
	s_or_b64 exec, exec, s[74:75]
	s_and_saveexec_b64 s[74:75], s[10:11]
	s_cbranch_execnz .LBB64_73
.LBB64_41:                              ;   in Loop: Header=BB64_33 Depth=1
	s_or_b64 exec, exec, s[74:75]
	s_and_saveexec_b64 s[74:75], s[12:13]
	s_cbranch_execnz .LBB64_74
.LBB64_42:                              ;   in Loop: Header=BB64_33 Depth=1
	s_or_b64 exec, exec, s[74:75]
	s_and_saveexec_b64 s[74:75], s[14:15]
	s_cbranch_execnz .LBB64_75
.LBB64_43:                              ;   in Loop: Header=BB64_33 Depth=1
	s_or_b64 exec, exec, s[74:75]
	s_and_saveexec_b64 s[74:75], s[16:17]
	s_cbranch_execnz .LBB64_76
.LBB64_44:                              ;   in Loop: Header=BB64_33 Depth=1
	s_or_b64 exec, exec, s[74:75]
	s_and_saveexec_b64 s[74:75], s[18:19]
	s_cbranch_execnz .LBB64_77
.LBB64_45:                              ;   in Loop: Header=BB64_33 Depth=1
	s_or_b64 exec, exec, s[74:75]
	s_and_saveexec_b64 s[74:75], s[20:21]
	s_cbranch_execnz .LBB64_78
.LBB64_46:                              ;   in Loop: Header=BB64_33 Depth=1
	s_or_b64 exec, exec, s[74:75]
	s_and_saveexec_b64 s[74:75], s[22:23]
	s_cbranch_execnz .LBB64_79
.LBB64_47:                              ;   in Loop: Header=BB64_33 Depth=1
	s_or_b64 exec, exec, s[74:75]
	s_and_saveexec_b64 s[74:75], s[24:25]
	s_cbranch_execnz .LBB64_80
.LBB64_48:                              ;   in Loop: Header=BB64_33 Depth=1
	s_or_b64 exec, exec, s[74:75]
	s_and_saveexec_b64 s[74:75], s[26:27]
	s_cbranch_execnz .LBB64_81
.LBB64_49:                              ;   in Loop: Header=BB64_33 Depth=1
	s_or_b64 exec, exec, s[74:75]
	s_and_saveexec_b64 s[74:75], s[28:29]
	s_cbranch_execnz .LBB64_82
.LBB64_50:                              ;   in Loop: Header=BB64_33 Depth=1
	s_or_b64 exec, exec, s[74:75]
	s_and_saveexec_b64 s[74:75], s[30:31]
	s_cbranch_execnz .LBB64_83
.LBB64_51:                              ;   in Loop: Header=BB64_33 Depth=1
	s_or_b64 exec, exec, s[74:75]
	s_and_saveexec_b64 s[74:75], s[34:35]
	s_cbranch_execnz .LBB64_84
.LBB64_52:                              ;   in Loop: Header=BB64_33 Depth=1
	s_or_b64 exec, exec, s[74:75]
	s_and_saveexec_b64 s[74:75], s[36:37]
	s_cbranch_execnz .LBB64_85
.LBB64_53:                              ;   in Loop: Header=BB64_33 Depth=1
	s_or_b64 exec, exec, s[74:75]
	s_and_saveexec_b64 s[74:75], s[38:39]
	s_cbranch_execnz .LBB64_86
.LBB64_54:                              ;   in Loop: Header=BB64_33 Depth=1
	s_or_b64 exec, exec, s[74:75]
	s_and_saveexec_b64 s[74:75], s[40:41]
	s_cbranch_execnz .LBB64_87
.LBB64_55:                              ;   in Loop: Header=BB64_33 Depth=1
	s_or_b64 exec, exec, s[74:75]
	s_and_saveexec_b64 s[74:75], s[42:43]
	s_cbranch_execnz .LBB64_88
.LBB64_56:                              ;   in Loop: Header=BB64_33 Depth=1
	s_or_b64 exec, exec, s[74:75]
	s_and_saveexec_b64 s[74:75], s[44:45]
	s_cbranch_execnz .LBB64_89
.LBB64_57:                              ;   in Loop: Header=BB64_33 Depth=1
	s_or_b64 exec, exec, s[74:75]
	s_and_saveexec_b64 s[74:75], s[46:47]
	s_cbranch_execnz .LBB64_90
.LBB64_58:                              ;   in Loop: Header=BB64_33 Depth=1
	s_or_b64 exec, exec, s[74:75]
	s_and_saveexec_b64 s[74:75], s[48:49]
	s_cbranch_execnz .LBB64_91
.LBB64_59:                              ;   in Loop: Header=BB64_33 Depth=1
	s_or_b64 exec, exec, s[74:75]
	s_and_saveexec_b64 s[74:75], s[50:51]
	s_cbranch_execnz .LBB64_92
.LBB64_60:                              ;   in Loop: Header=BB64_33 Depth=1
	s_or_b64 exec, exec, s[74:75]
	s_and_saveexec_b64 s[74:75], s[52:53]
	s_cbranch_execnz .LBB64_93
.LBB64_61:                              ;   in Loop: Header=BB64_33 Depth=1
	s_or_b64 exec, exec, s[74:75]
	s_and_saveexec_b64 s[74:75], s[54:55]
	s_cbranch_execnz .LBB64_94
.LBB64_62:                              ;   in Loop: Header=BB64_33 Depth=1
	s_or_b64 exec, exec, s[74:75]
	s_and_saveexec_b64 s[74:75], s[56:57]
	s_cbranch_execnz .LBB64_95
.LBB64_63:                              ;   in Loop: Header=BB64_33 Depth=1
	s_or_b64 exec, exec, s[74:75]
	s_and_saveexec_b64 s[74:75], s[58:59]
	s_cbranch_execnz .LBB64_96
.LBB64_64:                              ;   in Loop: Header=BB64_33 Depth=1
	s_or_b64 exec, exec, s[74:75]
	v_ashrrev_i32_e32 v10, 31, v9
	s_and_saveexec_b64 s[74:75], s[64:65]
	s_cbranch_execnz .LBB64_97
.LBB64_65:                              ;   in Loop: Header=BB64_33 Depth=1
	s_or_b64 exec, exec, s[74:75]
	s_and_saveexec_b64 s[64:65], vcc
	s_cbranch_execz .LBB64_32
	s_branch .LBB64_98
.LBB64_66:                              ;   in Loop: Header=BB64_33 Depth=1
	v_readlane_b32 s86, v22, 12
	v_mov_b32_e32 v1, s86
	ds_read_b32 v1, v1
	s_waitcnt lgkmcnt(0)
	v_add_u32_e32 v9, v1, v9
	s_or_b64 exec, exec, s[74:75]
	s_and_saveexec_b64 s[74:75], s[62:63]
	s_cbranch_execz .LBB64_35
.LBB64_67:                              ;   in Loop: Header=BB64_33 Depth=1
	v_readlane_b32 s86, v22, 13
	v_mov_b32_e32 v1, s86
	ds_read_b32 v1, v1
	s_waitcnt lgkmcnt(0)
	v_add_u32_e32 v9, v9, v1
	s_or_b64 exec, exec, s[74:75]
	s_and_saveexec_b64 s[74:75], s[0:1]
	s_cbranch_execz .LBB64_36
.LBB64_68:                              ;   in Loop: Header=BB64_33 Depth=1
	v_readlane_b32 s86, v22, 14
	v_mov_b32_e32 v1, s86
	ds_read_b32 v1, v1
	s_waitcnt lgkmcnt(0)
	v_add_u32_e32 v9, v9, v1
	s_or_b64 exec, exec, s[74:75]
	s_and_saveexec_b64 s[74:75], s[2:3]
	s_cbranch_execz .LBB64_37
.LBB64_69:                              ;   in Loop: Header=BB64_33 Depth=1
	v_readlane_b32 s86, v22, 15
	v_mov_b32_e32 v1, s86
	ds_read_b32 v1, v1
	s_waitcnt lgkmcnt(0)
	v_add_u32_e32 v9, v9, v1
	s_or_b64 exec, exec, s[74:75]
	s_and_saveexec_b64 s[74:75], s[4:5]
	s_cbranch_execz .LBB64_38
.LBB64_70:                              ;   in Loop: Header=BB64_33 Depth=1
	v_readlane_b32 s86, v22, 16
	v_mov_b32_e32 v1, s86
	ds_read_b32 v1, v1
	s_waitcnt lgkmcnt(0)
	v_add_u32_e32 v9, v9, v1
	s_or_b64 exec, exec, s[74:75]
	s_and_saveexec_b64 s[74:75], s[6:7]
	s_cbranch_execz .LBB64_39
.LBB64_71:                              ;   in Loop: Header=BB64_33 Depth=1
	v_readlane_b32 s86, v22, 17
	v_mov_b32_e32 v1, s86
	ds_read_b32 v1, v1
	s_waitcnt lgkmcnt(0)
	v_add_u32_e32 v9, v9, v1
	s_or_b64 exec, exec, s[74:75]
	s_and_saveexec_b64 s[74:75], s[8:9]
	s_cbranch_execz .LBB64_40
.LBB64_72:                              ;   in Loop: Header=BB64_33 Depth=1
	v_readlane_b32 s86, v22, 18
	v_mov_b32_e32 v1, s86
	ds_read_b32 v1, v1
	s_waitcnt lgkmcnt(0)
	v_add_u32_e32 v9, v9, v1
	s_or_b64 exec, exec, s[74:75]
	s_and_saveexec_b64 s[74:75], s[10:11]
	s_cbranch_execz .LBB64_41
.LBB64_73:                              ;   in Loop: Header=BB64_33 Depth=1
	v_readlane_b32 s86, v22, 19
	v_mov_b32_e32 v1, s86
	ds_read_b32 v1, v1
	s_waitcnt lgkmcnt(0)
	v_add_u32_e32 v9, v9, v1
	s_or_b64 exec, exec, s[74:75]
	s_and_saveexec_b64 s[74:75], s[12:13]
	s_cbranch_execz .LBB64_42
.LBB64_74:                              ;   in Loop: Header=BB64_33 Depth=1
	v_mov_b32_e32 v1, s85
	ds_read_b32 v1, v1
	s_waitcnt lgkmcnt(0)
	v_add_u32_e32 v9, v9, v1
	s_or_b64 exec, exec, s[74:75]
	s_and_saveexec_b64 s[74:75], s[14:15]
	s_cbranch_execz .LBB64_43
.LBB64_75:                              ;   in Loop: Header=BB64_33 Depth=1
	v_readlane_b32 s86, v22, 20
	v_mov_b32_e32 v1, s86
	ds_read_b32 v1, v1
	s_waitcnt lgkmcnt(0)
	v_add_u32_e32 v9, v9, v1
	s_or_b64 exec, exec, s[74:75]
	s_and_saveexec_b64 s[74:75], s[16:17]
	s_cbranch_execz .LBB64_44
.LBB64_76:                              ;   in Loop: Header=BB64_33 Depth=1
	v_mov_b32_e32 v1, s88
	ds_read_b32 v1, v1
	s_waitcnt lgkmcnt(0)
	v_add_u32_e32 v9, v9, v1
	s_or_b64 exec, exec, s[74:75]
	s_and_saveexec_b64 s[74:75], s[18:19]
	s_cbranch_execz .LBB64_45
.LBB64_77:                              ;   in Loop: Header=BB64_33 Depth=1
	v_mov_b32_e32 v1, s89
	ds_read_b32 v1, v1
	s_waitcnt lgkmcnt(0)
	v_add_u32_e32 v9, v9, v1
	s_or_b64 exec, exec, s[74:75]
	s_and_saveexec_b64 s[74:75], s[20:21]
	s_cbranch_execz .LBB64_46
.LBB64_78:                              ;   in Loop: Header=BB64_33 Depth=1
	v_mov_b32_e32 v1, s90
	ds_read_b32 v1, v1
	s_waitcnt lgkmcnt(0)
	v_add_u32_e32 v9, v9, v1
	s_or_b64 exec, exec, s[74:75]
	s_and_saveexec_b64 s[74:75], s[22:23]
	s_cbranch_execz .LBB64_47
.LBB64_79:                              ;   in Loop: Header=BB64_33 Depth=1
	v_mov_b32_e32 v1, s91
	ds_read_b32 v1, v1
	s_waitcnt lgkmcnt(0)
	v_add_u32_e32 v9, v9, v1
	s_or_b64 exec, exec, s[74:75]
	s_and_saveexec_b64 s[74:75], s[24:25]
	s_cbranch_execz .LBB64_48
.LBB64_80:                              ;   in Loop: Header=BB64_33 Depth=1
	v_mov_b32_e32 v1, s92
	ds_read_b32 v1, v1
	s_waitcnt lgkmcnt(0)
	v_add_u32_e32 v9, v9, v1
	s_or_b64 exec, exec, s[74:75]
	s_and_saveexec_b64 s[74:75], s[26:27]
	s_cbranch_execz .LBB64_49
.LBB64_81:                              ;   in Loop: Header=BB64_33 Depth=1
	v_mov_b32_e32 v1, s93
	ds_read_b32 v1, v1
	s_waitcnt lgkmcnt(0)
	v_add_u32_e32 v9, v9, v1
	s_or_b64 exec, exec, s[74:75]
	s_and_saveexec_b64 s[74:75], s[28:29]
	s_cbranch_execz .LBB64_50
.LBB64_82:                              ;   in Loop: Header=BB64_33 Depth=1
	v_mov_b32_e32 v1, s94
	ds_read_b32 v1, v1
	s_waitcnt lgkmcnt(0)
	v_add_u32_e32 v9, v9, v1
	s_or_b64 exec, exec, s[74:75]
	s_and_saveexec_b64 s[74:75], s[30:31]
	s_cbranch_execz .LBB64_51
.LBB64_83:                              ;   in Loop: Header=BB64_33 Depth=1
	v_mov_b32_e32 v1, s95
	ds_read_b32 v1, v1
	s_waitcnt lgkmcnt(0)
	v_add_u32_e32 v9, v9, v1
	s_or_b64 exec, exec, s[74:75]
	s_and_saveexec_b64 s[74:75], s[34:35]
	s_cbranch_execz .LBB64_52
.LBB64_84:                              ;   in Loop: Header=BB64_33 Depth=1
	v_mov_b32_e32 v1, s70
	ds_read_b32 v1, v1
	s_waitcnt lgkmcnt(0)
	v_add_u32_e32 v9, v9, v1
	s_or_b64 exec, exec, s[74:75]
	s_and_saveexec_b64 s[74:75], s[36:37]
	s_cbranch_execz .LBB64_53
.LBB64_85:                              ;   in Loop: Header=BB64_33 Depth=1
	v_mov_b32_e32 v1, s71
	ds_read_b32 v1, v1
	s_waitcnt lgkmcnt(0)
	v_add_u32_e32 v9, v9, v1
	s_or_b64 exec, exec, s[74:75]
	s_and_saveexec_b64 s[74:75], s[38:39]
	s_cbranch_execz .LBB64_54
.LBB64_86:                              ;   in Loop: Header=BB64_33 Depth=1
	v_mov_b32_e32 v1, s78
	ds_read_b32 v1, v1
	s_waitcnt lgkmcnt(0)
	v_add_u32_e32 v9, v9, v1
	s_or_b64 exec, exec, s[74:75]
	s_and_saveexec_b64 s[74:75], s[40:41]
	s_cbranch_execz .LBB64_55
.LBB64_87:                              ;   in Loop: Header=BB64_33 Depth=1
	v_mov_b32_e32 v1, s79
	ds_read_b32 v1, v1
	s_waitcnt lgkmcnt(0)
	v_add_u32_e32 v9, v9, v1
	s_or_b64 exec, exec, s[74:75]
	s_and_saveexec_b64 s[74:75], s[42:43]
	s_cbranch_execz .LBB64_56
.LBB64_88:                              ;   in Loop: Header=BB64_33 Depth=1
	v_mov_b32_e32 v1, s66
	ds_read_b32 v1, v1
	s_waitcnt lgkmcnt(0)
	v_add_u32_e32 v9, v9, v1
	s_or_b64 exec, exec, s[74:75]
	s_and_saveexec_b64 s[74:75], s[44:45]
	s_cbranch_execz .LBB64_57
.LBB64_89:                              ;   in Loop: Header=BB64_33 Depth=1
	v_mov_b32_e32 v1, s80
	ds_read_b32 v1, v1
	s_waitcnt lgkmcnt(0)
	v_add_u32_e32 v9, v9, v1
	s_or_b64 exec, exec, s[74:75]
	s_and_saveexec_b64 s[74:75], s[46:47]
	s_cbranch_execz .LBB64_58
.LBB64_90:                              ;   in Loop: Header=BB64_33 Depth=1
	v_mov_b32_e32 v1, s81
	ds_read_b32 v1, v1
	s_waitcnt lgkmcnt(0)
	v_add_u32_e32 v9, v9, v1
	s_or_b64 exec, exec, s[74:75]
	s_and_saveexec_b64 s[74:75], s[48:49]
	s_cbranch_execz .LBB64_59
.LBB64_91:                              ;   in Loop: Header=BB64_33 Depth=1
	v_mov_b32_e32 v1, s33
	ds_read_b32 v1, v1
	s_waitcnt lgkmcnt(0)
	v_add_u32_e32 v9, v9, v1
	s_or_b64 exec, exec, s[74:75]
	s_and_saveexec_b64 s[74:75], s[50:51]
	s_cbranch_execz .LBB64_60
.LBB64_92:                              ;   in Loop: Header=BB64_33 Depth=1
	v_mov_b32_e32 v1, s67
	ds_read_b32 v1, v1
	s_waitcnt lgkmcnt(0)
	v_add_u32_e32 v9, v9, v1
	s_or_b64 exec, exec, s[74:75]
	s_and_saveexec_b64 s[74:75], s[52:53]
	s_cbranch_execz .LBB64_61
.LBB64_93:                              ;   in Loop: Header=BB64_33 Depth=1
	v_mov_b32_e32 v1, s76
	ds_read_b32 v1, v1
	s_waitcnt lgkmcnt(0)
	v_add_u32_e32 v9, v9, v1
	s_or_b64 exec, exec, s[74:75]
	s_and_saveexec_b64 s[74:75], s[54:55]
	s_cbranch_execz .LBB64_62
.LBB64_94:                              ;   in Loop: Header=BB64_33 Depth=1
	v_mov_b32_e32 v1, s77
	ds_read_b32 v1, v1
	s_waitcnt lgkmcnt(0)
	v_add_u32_e32 v9, v9, v1
	s_or_b64 exec, exec, s[74:75]
	s_and_saveexec_b64 s[74:75], s[56:57]
	s_cbranch_execz .LBB64_63
.LBB64_95:                              ;   in Loop: Header=BB64_33 Depth=1
	v_mov_b32_e32 v1, s82
	ds_read_b32 v1, v1
	s_waitcnt lgkmcnt(0)
	v_add_u32_e32 v9, v9, v1
	s_or_b64 exec, exec, s[74:75]
	s_and_saveexec_b64 s[74:75], s[58:59]
	s_cbranch_execz .LBB64_64
.LBB64_96:                              ;   in Loop: Header=BB64_33 Depth=1
	v_mov_b32_e32 v1, s83
	ds_read_b32 v1, v1
	s_waitcnt lgkmcnt(0)
	v_add_u32_e32 v9, v9, v1
	s_or_b64 exec, exec, s[74:75]
	v_ashrrev_i32_e32 v10, 31, v9
	s_and_saveexec_b64 s[74:75], s[64:65]
	s_cbranch_execz .LBB64_65
.LBB64_97:                              ;   in Loop: Header=BB64_33 Depth=1
	v_lshlrev_b32_e32 v1, 3, v5
	v_add_u32_e32 v1, 0, v1
	v_lshlrev_b32_e32 v14, 3, v9
	v_add3_u32 v1, v1, v14, -8
	ds_write_b64 v1, v[7:8]
	s_or_b64 exec, exec, s[74:75]
	s_and_saveexec_b64 s[64:65], vcc
	s_cbranch_execz .LBB64_32
.LBB64_98:                              ;   in Loop: Header=BB64_33 Depth=1
	v_mov_b32_e32 v1, s84
	ds_write_b64 v1, v[9:10]
	s_branch .LBB64_32
.LBB64_99:
	s_or_b64 exec, exec, s[72:73]
	v_readlane_b32 s0, v22, 6
	v_readlane_b32 s4, v22, 2
	;; [unrolled: 1-line block ×5, first 2 shown]
	s_lshl_b64 s[0:1], s[0:1], 3
	s_mov_b64 s[2:3], s[6:7]
	v_readlane_b32 s5, v22, 3
	s_add_u32 s4, s2, s0
	s_addc_u32 s5, s3, s1
	s_load_dwordx4 s[0:3], s[4:5], 0x0
	v_mov_b32_e32 v1, 0
	s_waitcnt lgkmcnt(0)
	s_sub_u32 s4, s2, s0
	s_subb_u32 s5, s3, s1
	v_cmp_gt_i64_e32 vcc, s[4:5], v[0:1]
	s_and_saveexec_b64 s[6:7], vcc
	v_readlane_b32 s16, v22, 8
	v_readlane_b32 s18, v22, 10
	v_readlane_b32 s17, v22, 9
	v_readlane_b32 s19, v22, 11
	s_cbranch_execz .LBB64_109
; %bb.100:
	s_sub_u32 s8, s0, s18
	s_subb_u32 s9, s1, 0
	s_and_b32 s6, s4, 7
	s_sub_u32 s0, s0, s2
	s_subb_u32 s1, s1, s3
	v_cmp_lt_u64_e64 s[0:1], s[0:1], -7
	s_mov_b32 s7, 0
	s_and_b32 s10, s4, -8
	s_cmp_lg_u64 s[6:7], 0
	v_cndmask_b32_e64 v2, 0, 1, s[0:1]
	s_mov_b32 s11, s5
	s_mov_b64 s[12:13], 0
	s_cselect_b64 s[14:15], -1, 0
	v_cmp_ne_u32_e64 s[0:1], 1, v2
	s_branch .LBB64_102
.LBB64_101:                             ;   in Loop: Header=BB64_102 Depth=1
	s_waitcnt lgkmcnt(0)
	v_add_co_u32_e32 v2, vcc, s18, v2
	v_addc_co_u32_e32 v3, vcc, 0, v3, vcc
	v_add_co_u32_e32 v0, vcc, 0x400, v0
	v_lshlrev_b64 v[4:5], 3, v[4:5]
	v_readlane_b32 s2, v22, 0
	v_addc_co_u32_e32 v1, vcc, 0, v1, vcc
	v_readlane_b32 s3, v22, 1
	v_cmp_le_i64_e32 vcc, s[4:5], v[0:1]
	v_mov_b32_e32 v6, s3
	v_add_co_u32_e64 v4, s[2:3], s2, v4
	v_addc_co_u32_e64 v5, s[2:3], v6, v5, s[2:3]
	s_or_b64 s[12:13], vcc, s[12:13]
	global_store_dwordx2 v[4:5], v[2:3], off
	s_andn2_b64 exec, exec, s[12:13]
	s_cbranch_execz .LBB64_109
.LBB64_102:                             ; =>This Loop Header: Depth=1
                                        ;     Child Loop BB64_104 Depth 2
                                        ;     Child Loop BB64_108 Depth 2
	v_lshl_add_u32 v2, v0, 3, 0
	ds_read_b64 v[2:3], v2
	v_mov_b32_e32 v4, s8
	s_and_b64 vcc, exec, s[0:1]
	v_mov_b32_e32 v5, s9
	s_mov_b64 s[2:3], 0
	s_cbranch_vccnz .LBB64_106
; %bb.103:                              ;   in Loop: Header=BB64_102 Depth=1
	v_mov_b32_e32 v4, s8
	s_mov_b32 s16, 0
	v_mov_b32_e32 v5, s9
.LBB64_104:                             ;   Parent Loop BB64_102 Depth=1
                                        ; =>  This Inner Loop Header: Depth=2
	v_mov_b32_e32 v18, s16
	ds_read2_b64 v[6:9], v18 offset1:1
	ds_read2_b64 v[10:13], v18 offset0:2 offset1:3
	ds_read2_b64 v[14:17], v18 offset0:4 offset1:5
	;; [unrolled: 1-line block ×3, first 2 shown]
	s_add_u32 s2, s2, 8
	s_waitcnt lgkmcnt(3)
	v_cmp_gt_i64_e32 vcc, v[2:3], v[6:7]
	s_addc_u32 s3, s3, 0
	v_cndmask_b32_e64 v6, 0, 1, vcc
	v_cmp_gt_i64_e32 vcc, v[2:3], v[8:9]
	s_add_i32 s16, s16, 64
	v_cndmask_b32_e64 v7, 0, 1, vcc
	s_waitcnt lgkmcnt(2)
	v_cmp_gt_i64_e32 vcc, v[2:3], v[10:11]
	s_cmp_eq_u64 s[10:11], s[2:3]
	v_cndmask_b32_e64 v8, 0, 1, vcc
	v_cmp_gt_i64_e32 vcc, v[2:3], v[12:13]
	v_cndmask_b32_e64 v9, 0, 1, vcc
	s_waitcnt lgkmcnt(1)
	v_cmp_gt_i64_e32 vcc, v[2:3], v[14:15]
	v_cndmask_b32_e64 v10, 0, 1, vcc
	v_cmp_gt_i64_e32 vcc, v[2:3], v[16:17]
	v_cndmask_b32_e64 v11, 0, 1, vcc
	s_waitcnt lgkmcnt(0)
	v_cmp_gt_i64_e32 vcc, v[2:3], v[18:19]
	v_cndmask_b32_e64 v12, 0, 1, vcc
	v_cmp_gt_i64_e32 vcc, v[2:3], v[20:21]
	v_cndmask_b32_e64 v13, 0, 1, vcc
	v_add_co_u32_e32 v4, vcc, v4, v6
	v_addc_co_u32_e32 v5, vcc, 0, v5, vcc
	v_add_co_u32_e32 v4, vcc, v4, v7
	v_addc_co_u32_e32 v5, vcc, 0, v5, vcc
	;; [unrolled: 2-line block ×8, first 2 shown]
	s_cbranch_scc0 .LBB64_104
; %bb.105:                              ;   in Loop: Header=BB64_102 Depth=1
	s_mov_b64 s[2:3], s[10:11]
.LBB64_106:                             ;   in Loop: Header=BB64_102 Depth=1
	s_andn2_b64 vcc, exec, s[14:15]
	s_cbranch_vccnz .LBB64_101
; %bb.107:                              ;   in Loop: Header=BB64_102 Depth=1
	s_lshl_b32 s2, s2, 3
	s_add_i32 s16, s2, 0
	s_mov_b64 s[2:3], s[6:7]
.LBB64_108:                             ;   Parent Loop BB64_102 Depth=1
                                        ; =>  This Inner Loop Header: Depth=2
	v_mov_b32_e32 v6, s16
	ds_read_b64 v[6:7], v6
	s_add_i32 s16, s16, 8
	s_add_u32 s2, s2, -1
	s_addc_u32 s3, s3, -1
	s_cmp_lg_u64 s[2:3], 0
	s_waitcnt lgkmcnt(0)
	v_cmp_gt_i64_e32 vcc, v[2:3], v[6:7]
	v_cndmask_b32_e64 v6, 0, 1, vcc
	v_add_co_u32_e32 v4, vcc, v4, v6
	v_addc_co_u32_e32 v5, vcc, 0, v5, vcc
	s_cbranch_scc1 .LBB64_108
	s_branch .LBB64_101
.LBB64_109:
	s_endpgm
	.section	.rodata,"a",@progbits
	.p2align	6, 0x0
	.amdhsa_kernel _ZN9rocsparseL35csrgemm_symbolic_fill_block_per_rowILj1024ELj64ELj16384ELj137ELj32EllEEvT5_PKS1_S3_PKT4_S3_S6_S3_S6_S3_S6_PS1_21rocsparse_index_base_S8_S8_S8_bb
		.amdhsa_group_segment_fixed_size 0
		.amdhsa_private_segment_fixed_size 0
		.amdhsa_kernarg_size 108
		.amdhsa_user_sgpr_count 6
		.amdhsa_user_sgpr_private_segment_buffer 1
		.amdhsa_user_sgpr_dispatch_ptr 0
		.amdhsa_user_sgpr_queue_ptr 0
		.amdhsa_user_sgpr_kernarg_segment_ptr 1
		.amdhsa_user_sgpr_dispatch_id 0
		.amdhsa_user_sgpr_flat_scratch_init 0
		.amdhsa_user_sgpr_private_segment_size 0
		.amdhsa_uses_dynamic_stack 0
		.amdhsa_system_sgpr_private_segment_wavefront_offset 0
		.amdhsa_system_sgpr_workgroup_id_x 1
		.amdhsa_system_sgpr_workgroup_id_y 0
		.amdhsa_system_sgpr_workgroup_id_z 0
		.amdhsa_system_sgpr_workgroup_info 0
		.amdhsa_system_vgpr_workitem_id 0
		.amdhsa_next_free_vgpr 23
		.amdhsa_next_free_sgpr 96
		.amdhsa_reserve_vcc 1
		.amdhsa_reserve_flat_scratch 0
		.amdhsa_float_round_mode_32 0
		.amdhsa_float_round_mode_16_64 0
		.amdhsa_float_denorm_mode_32 3
		.amdhsa_float_denorm_mode_16_64 3
		.amdhsa_dx10_clamp 1
		.amdhsa_ieee_mode 1
		.amdhsa_fp16_overflow 0
		.amdhsa_exception_fp_ieee_invalid_op 0
		.amdhsa_exception_fp_denorm_src 0
		.amdhsa_exception_fp_ieee_div_zero 0
		.amdhsa_exception_fp_ieee_overflow 0
		.amdhsa_exception_fp_ieee_underflow 0
		.amdhsa_exception_fp_ieee_inexact 0
		.amdhsa_exception_int_div_zero 0
	.end_amdhsa_kernel
	.section	.text._ZN9rocsparseL35csrgemm_symbolic_fill_block_per_rowILj1024ELj64ELj16384ELj137ELj32EllEEvT5_PKS1_S3_PKT4_S3_S6_S3_S6_S3_S6_PS1_21rocsparse_index_base_S8_S8_S8_bb,"axG",@progbits,_ZN9rocsparseL35csrgemm_symbolic_fill_block_per_rowILj1024ELj64ELj16384ELj137ELj32EllEEvT5_PKS1_S3_PKT4_S3_S6_S3_S6_S3_S6_PS1_21rocsparse_index_base_S8_S8_S8_bb,comdat
.Lfunc_end64:
	.size	_ZN9rocsparseL35csrgemm_symbolic_fill_block_per_rowILj1024ELj64ELj16384ELj137ELj32EllEEvT5_PKS1_S3_PKT4_S3_S6_S3_S6_S3_S6_PS1_21rocsparse_index_base_S8_S8_S8_bb, .Lfunc_end64-_ZN9rocsparseL35csrgemm_symbolic_fill_block_per_rowILj1024ELj64ELj16384ELj137ELj32EllEEvT5_PKS1_S3_PKT4_S3_S6_S3_S6_S3_S6_PS1_21rocsparse_index_base_S8_S8_S8_bb
                                        ; -- End function
	.set _ZN9rocsparseL35csrgemm_symbolic_fill_block_per_rowILj1024ELj64ELj16384ELj137ELj32EllEEvT5_PKS1_S3_PKT4_S3_S6_S3_S6_S3_S6_PS1_21rocsparse_index_base_S8_S8_S8_bb.num_vgpr, 23
	.set _ZN9rocsparseL35csrgemm_symbolic_fill_block_per_rowILj1024ELj64ELj16384ELj137ELj32EllEEvT5_PKS1_S3_PKT4_S3_S6_S3_S6_S3_S6_PS1_21rocsparse_index_base_S8_S8_S8_bb.num_agpr, 0
	.set _ZN9rocsparseL35csrgemm_symbolic_fill_block_per_rowILj1024ELj64ELj16384ELj137ELj32EllEEvT5_PKS1_S3_PKT4_S3_S6_S3_S6_S3_S6_PS1_21rocsparse_index_base_S8_S8_S8_bb.numbered_sgpr, 96
	.set _ZN9rocsparseL35csrgemm_symbolic_fill_block_per_rowILj1024ELj64ELj16384ELj137ELj32EllEEvT5_PKS1_S3_PKT4_S3_S6_S3_S6_S3_S6_PS1_21rocsparse_index_base_S8_S8_S8_bb.num_named_barrier, 0
	.set _ZN9rocsparseL35csrgemm_symbolic_fill_block_per_rowILj1024ELj64ELj16384ELj137ELj32EllEEvT5_PKS1_S3_PKT4_S3_S6_S3_S6_S3_S6_PS1_21rocsparse_index_base_S8_S8_S8_bb.private_seg_size, 0
	.set _ZN9rocsparseL35csrgemm_symbolic_fill_block_per_rowILj1024ELj64ELj16384ELj137ELj32EllEEvT5_PKS1_S3_PKT4_S3_S6_S3_S6_S3_S6_PS1_21rocsparse_index_base_S8_S8_S8_bb.uses_vcc, 1
	.set _ZN9rocsparseL35csrgemm_symbolic_fill_block_per_rowILj1024ELj64ELj16384ELj137ELj32EllEEvT5_PKS1_S3_PKT4_S3_S6_S3_S6_S3_S6_PS1_21rocsparse_index_base_S8_S8_S8_bb.uses_flat_scratch, 0
	.set _ZN9rocsparseL35csrgemm_symbolic_fill_block_per_rowILj1024ELj64ELj16384ELj137ELj32EllEEvT5_PKS1_S3_PKT4_S3_S6_S3_S6_S3_S6_PS1_21rocsparse_index_base_S8_S8_S8_bb.has_dyn_sized_stack, 0
	.set _ZN9rocsparseL35csrgemm_symbolic_fill_block_per_rowILj1024ELj64ELj16384ELj137ELj32EllEEvT5_PKS1_S3_PKT4_S3_S6_S3_S6_S3_S6_PS1_21rocsparse_index_base_S8_S8_S8_bb.has_recursion, 0
	.set _ZN9rocsparseL35csrgemm_symbolic_fill_block_per_rowILj1024ELj64ELj16384ELj137ELj32EllEEvT5_PKS1_S3_PKT4_S3_S6_S3_S6_S3_S6_PS1_21rocsparse_index_base_S8_S8_S8_bb.has_indirect_call, 0
	.section	.AMDGPU.csdata,"",@progbits
; Kernel info:
; codeLenInByte = 4332
; TotalNumSgprs: 100
; NumVgprs: 23
; ScratchSize: 0
; MemoryBound: 0
; FloatMode: 240
; IeeeMode: 1
; LDSByteSize: 0 bytes/workgroup (compile time only)
; SGPRBlocks: 12
; VGPRBlocks: 5
; NumSGPRsForWavesPerEU: 100
; NumVGPRsForWavesPerEU: 23
; Occupancy: 8
; WaveLimiterHint : 1
; COMPUTE_PGM_RSRC2:SCRATCH_EN: 0
; COMPUTE_PGM_RSRC2:USER_SGPR: 6
; COMPUTE_PGM_RSRC2:TRAP_HANDLER: 0
; COMPUTE_PGM_RSRC2:TGID_X_EN: 1
; COMPUTE_PGM_RSRC2:TGID_Y_EN: 0
; COMPUTE_PGM_RSRC2:TGID_Z_EN: 0
; COMPUTE_PGM_RSRC2:TIDIG_COMP_CNT: 0
	.section	.text._ZN9rocsparseL35csrgemm_symbolic_fill_block_per_rowILj1024ELj64ELj16384ELj137ELj64EllEEvT5_PKS1_S3_PKT4_S3_S6_S3_S6_S3_S6_PS1_21rocsparse_index_base_S8_S8_S8_bb,"axG",@progbits,_ZN9rocsparseL35csrgemm_symbolic_fill_block_per_rowILj1024ELj64ELj16384ELj137ELj64EllEEvT5_PKS1_S3_PKT4_S3_S6_S3_S6_S3_S6_PS1_21rocsparse_index_base_S8_S8_S8_bb,comdat
	.globl	_ZN9rocsparseL35csrgemm_symbolic_fill_block_per_rowILj1024ELj64ELj16384ELj137ELj64EllEEvT5_PKS1_S3_PKT4_S3_S6_S3_S6_S3_S6_PS1_21rocsparse_index_base_S8_S8_S8_bb ; -- Begin function _ZN9rocsparseL35csrgemm_symbolic_fill_block_per_rowILj1024ELj64ELj16384ELj137ELj64EllEEvT5_PKS1_S3_PKT4_S3_S6_S3_S6_S3_S6_PS1_21rocsparse_index_base_S8_S8_S8_bb
	.p2align	8
	.type	_ZN9rocsparseL35csrgemm_symbolic_fill_block_per_rowILj1024ELj64ELj16384ELj137ELj64EllEEvT5_PKS1_S3_PKT4_S3_S6_S3_S6_S3_S6_PS1_21rocsparse_index_base_S8_S8_S8_bb,@function
_ZN9rocsparseL35csrgemm_symbolic_fill_block_per_rowILj1024ELj64ELj16384ELj137ELj64EllEEvT5_PKS1_S3_PKT4_S3_S6_S3_S6_S3_S6_PS1_21rocsparse_index_base_S8_S8_S8_bb: ; @_ZN9rocsparseL35csrgemm_symbolic_fill_block_per_rowILj1024ELj64ELj16384ELj137ELj64EllEEvT5_PKS1_S3_PKT4_S3_S6_S3_S6_S3_S6_PS1_21rocsparse_index_base_S8_S8_S8_bb
; %bb.0:
	s_load_dwordx2 s[34:35], s[4:5], 0x50
	s_load_dwordx4 s[48:51], s[4:5], 0x40
	s_load_dwordx8 s[36:43], s[4:5], 0x0
	s_load_dwordx8 s[8:15], s[4:5], 0x20
	v_or_b32_e32 v11, 0xfffffc00, v0
	v_lshl_add_u32 v12, v0, 3, 0
	s_mov_b64 s[0:1], 0
	s_waitcnt lgkmcnt(0)
	v_mov_b32_e32 v1, s36
	v_mov_b32_e32 v2, s37
	s_movk_i32 s2, 0x3bff
	v_mov_b32_e32 v3, v12
	v_mov_b32_e32 v4, v11
.LBB65_1:                               ; =>This Inner Loop Header: Depth=1
	v_add_u32_e32 v4, 0x400, v4
	v_cmp_lt_u32_e32 vcc, s2, v4
	ds_write_b64 v3, v[1:2]
	s_or_b64 s[0:1], vcc, s[0:1]
	v_add_u32_e32 v3, 0x2000, v3
	s_andn2_b64 exec, exec, s[0:1]
	s_cbranch_execnz .LBB65_1
; %bb.2:
	s_or_b64 exec, exec, s[0:1]
	s_load_dword s28, s[4:5], 0x68
	s_waitcnt lgkmcnt(0)
	s_barrier
	s_load_dwordx2 s[0:1], s[38:39], 0x0
	s_load_dwordx4 s[44:47], s[4:5], 0x58
	s_bitcmp1_b32 s28, 0
	s_cselect_b64 s[2:3], -1, 0
	s_mov_b32 s7, 0
	s_waitcnt lgkmcnt(0)
	s_lshl_b64 s[0:1], s[0:1], 3
	s_add_u32 s4, s40, s0
	s_addc_u32 s5, s41, s1
	s_lshl_b64 s[0:1], s[6:7], 3
	s_add_u32 s0, s4, s0
	s_addc_u32 s1, s5, s1
	s_load_dwordx2 s[38:39], s[0:1], 0x0
	v_lshrrev_b32_e32 v13, 6, v0
	s_and_b64 vcc, exec, s[2:3]
	s_cbranch_vccz .LBB65_18
; %bb.3:
	s_waitcnt lgkmcnt(0)
	s_lshl_b64 s[0:1], s[38:39], 3
	s_add_u32 s0, s42, s0
	s_addc_u32 s1, s43, s1
	s_load_dwordx4 s[4:7], s[0:1], 0x0
	v_subrev_co_u32_e32 v1, vcc, s44, v13
	v_subb_co_u32_e64 v2, s[0:1], 0, 0, vcc
	s_waitcnt lgkmcnt(0)
	s_sub_u32 s0, s6, s44
	v_mov_b32_e32 v3, s5
	v_add_co_u32_e32 v1, vcc, s4, v1
	s_subb_u32 s1, s7, 0
	v_addc_co_u32_e32 v2, vcc, v3, v2, vcc
	v_cmp_gt_i64_e32 vcc, s[0:1], v[1:2]
	s_and_saveexec_b64 s[2:3], vcc
	s_cbranch_execz .LBB65_17
; %bb.4:
	v_and_b32_e32 v3, 63, v0
	v_subrev_co_u32_e32 v14, vcc, s45, v3
	v_subb_co_u32_e64 v15, s[4:5], 0, 0, vcc
	s_mov_b32 s29, s45
	s_mov_b64 s[4:5], 0
	v_mov_b32_e32 v16, s9
	v_mov_b32_e32 v17, s11
	s_movk_i32 s9, 0x89
	s_branch .LBB65_6
.LBB65_5:                               ;   in Loop: Header=BB65_6 Depth=1
	s_or_b64 exec, exec, s[6:7]
	v_add_co_u32_e32 v1, vcc, 16, v1
	v_addc_co_u32_e32 v2, vcc, 0, v2, vcc
	v_cmp_le_i64_e32 vcc, s[0:1], v[1:2]
	s_or_b64 s[4:5], vcc, s[4:5]
	s_andn2_b64 exec, exec, s[4:5]
	s_cbranch_execz .LBB65_17
.LBB65_6:                               ; =>This Loop Header: Depth=1
                                        ;     Child Loop BB65_9 Depth 2
                                        ;       Child Loop BB65_12 Depth 3
	v_lshlrev_b64 v[3:4], 3, v[1:2]
	v_add_co_u32_e32 v3, vcc, s8, v3
	v_addc_co_u32_e32 v4, vcc, v16, v4, vcc
	global_load_dwordx2 v[3:4], v[3:4], off
	s_waitcnt vmcnt(0)
	v_subrev_co_u32_e32 v3, vcc, s44, v3
	v_subbrev_co_u32_e32 v4, vcc, 0, v4, vcc
	v_lshlrev_b64 v[3:4], 3, v[3:4]
	v_add_co_u32_e32 v3, vcc, s10, v3
	v_addc_co_u32_e32 v4, vcc, v17, v4, vcc
	global_load_dwordx4 v[5:8], v[3:4], off
	s_waitcnt vmcnt(0)
	v_subrev_co_u32_e32 v3, vcc, s29, v7
	v_subbrev_co_u32_e32 v4, vcc, 0, v8, vcc
	v_add_co_u32_e32 v5, vcc, v5, v14
	v_addc_co_u32_e32 v6, vcc, v6, v15, vcc
	v_cmp_lt_i64_e32 vcc, v[5:6], v[3:4]
	s_and_saveexec_b64 s[6:7], vcc
	s_cbranch_execz .LBB65_5
; %bb.7:                                ;   in Loop: Header=BB65_6 Depth=1
	s_mov_b64 s[16:17], 0
	s_branch .LBB65_9
.LBB65_8:                               ;   in Loop: Header=BB65_9 Depth=2
	s_or_b64 exec, exec, s[18:19]
	v_add_co_u32_e32 v5, vcc, 64, v5
	v_addc_co_u32_e32 v6, vcc, 0, v6, vcc
	v_cmp_ge_i64_e32 vcc, v[5:6], v[3:4]
	s_or_b64 s[16:17], vcc, s[16:17]
	s_andn2_b64 exec, exec, s[16:17]
	s_cbranch_execz .LBB65_5
.LBB65_9:                               ;   Parent Loop BB65_6 Depth=1
                                        ; =>  This Loop Header: Depth=2
                                        ;       Child Loop BB65_12 Depth 3
	v_lshlrev_b64 v[7:8], 3, v[5:6]
	v_mov_b32_e32 v9, s13
	v_add_co_u32_e32 v7, vcc, s12, v7
	v_addc_co_u32_e32 v8, vcc, v9, v8, vcc
	global_load_dwordx2 v[7:8], v[7:8], off
	s_mov_b64 s[18:19], 0
                                        ; implicit-def: $sgpr20_sgpr21
	s_waitcnt vmcnt(0)
	v_subrev_co_u32_e32 v7, vcc, s29, v7
	v_mul_lo_u32 v9, v7, s9
	v_subbrev_co_u32_e32 v8, vcc, 0, v8, vcc
	v_and_b32_e32 v18, 0x3fff, v9
	s_branch .LBB65_12
.LBB65_10:                              ;   in Loop: Header=BB65_12 Depth=3
	s_or_b64 exec, exec, s[24:25]
	s_andn2_b64 s[20:21], s[20:21], exec
	s_and_b64 s[24:25], s[26:27], exec
	s_or_b64 s[20:21], s[20:21], s[24:25]
.LBB65_11:                              ;   in Loop: Header=BB65_12 Depth=3
	s_or_b64 exec, exec, s[22:23]
	s_xor_b64 s[22:23], s[20:21], -1
	s_and_b64 s[22:23], exec, s[22:23]
	s_or_b64 s[18:19], s[22:23], s[18:19]
	s_andn2_b64 exec, exec, s[18:19]
	s_cbranch_execz .LBB65_8
.LBB65_12:                              ;   Parent Loop BB65_6 Depth=1
                                        ;     Parent Loop BB65_9 Depth=2
                                        ; =>    This Inner Loop Header: Depth=3
	v_lshl_add_u32 v19, v18, 3, 0
	ds_read_b64 v[9:10], v19
	s_andn2_b64 s[20:21], s[20:21], exec
	s_waitcnt lgkmcnt(0)
	v_cmp_ne_u64_e32 vcc, v[9:10], v[7:8]
	s_and_saveexec_b64 s[22:23], vcc
	s_cbranch_execz .LBB65_11
; %bb.13:                               ;   in Loop: Header=BB65_12 Depth=3
	v_cmp_ne_u64_e32 vcc, s[36:37], v[9:10]
	s_and_saveexec_b64 s[24:25], vcc
	s_xor_b64 s[24:25], exec, s[24:25]
; %bb.14:                               ;   in Loop: Header=BB65_12 Depth=3
	v_add_u32_e32 v9, 1, v18
	v_and_b32_e32 v18, 0x3fff, v9
                                        ; implicit-def: $vgpr19
; %bb.15:                               ;   in Loop: Header=BB65_12 Depth=3
	s_or_saveexec_b64 s[24:25], s[24:25]
	s_mov_b64 s[26:27], -1
	s_xor_b64 exec, exec, s[24:25]
	s_cbranch_execz .LBB65_10
; %bb.16:                               ;   in Loop: Header=BB65_12 Depth=3
	v_mov_b32_e32 v9, s36
	v_mov_b32_e32 v10, s37
	ds_cmpst_rtn_b64 v[9:10], v19, v[9:10], v[7:8]
	s_waitcnt lgkmcnt(0)
	v_cmp_ne_u64_e32 vcc, s[36:37], v[9:10]
	s_orn2_b64 s[26:27], vcc, exec
	s_branch .LBB65_10
.LBB65_17:
	s_or_b64 exec, exec, s[2:3]
.LBB65_18:
	s_bfe_u32 s0, s28, 0x10008
	s_cmp_eq_u32 s0, 0
	s_cbranch_scc1 .LBB65_31
; %bb.19:
	s_waitcnt lgkmcnt(0)
	s_lshl_b64 s[0:1], s[38:39], 3
	s_add_u32 s0, s14, s0
	s_addc_u32 s1, s15, s1
	s_load_dwordx4 s[4:7], s[0:1], 0x0
	v_subrev_co_u32_e32 v1, vcc, s47, v0
	v_subb_co_u32_e64 v2, s[0:1], 0, 0, vcc
	s_waitcnt lgkmcnt(0)
	s_sub_u32 s0, s6, s47
	v_mov_b32_e32 v3, s5
	v_add_co_u32_e32 v1, vcc, s4, v1
	s_subb_u32 s1, s7, 0
	v_addc_co_u32_e32 v2, vcc, v3, v2, vcc
	v_cmp_gt_i64_e32 vcc, s[0:1], v[1:2]
	s_and_saveexec_b64 s[2:3], vcc
	s_cbranch_execz .LBB65_30
; %bb.20:
	s_mov_b32 s16, s47
	s_mov_b64 s[4:5], 0
	v_mov_b32_e32 v7, s49
	s_movk_i32 s17, 0x89
	s_branch .LBB65_22
.LBB65_21:                              ;   in Loop: Header=BB65_22 Depth=1
	s_or_b64 exec, exec, s[6:7]
	v_add_co_u32_e32 v1, vcc, 0x400, v1
	v_addc_co_u32_e32 v2, vcc, 0, v2, vcc
	v_cmp_le_i64_e32 vcc, s[0:1], v[1:2]
	s_or_b64 s[4:5], vcc, s[4:5]
	s_andn2_b64 exec, exec, s[4:5]
	s_cbranch_execz .LBB65_30
.LBB65_22:                              ; =>This Loop Header: Depth=1
                                        ;     Child Loop BB65_25 Depth 2
	v_lshlrev_b64 v[3:4], 3, v[1:2]
	s_mov_b64 s[6:7], 0
	v_add_co_u32_e32 v3, vcc, s48, v3
	v_addc_co_u32_e32 v4, vcc, v7, v4, vcc
	global_load_dwordx2 v[3:4], v[3:4], off
                                        ; implicit-def: $sgpr8_sgpr9
	s_waitcnt vmcnt(0)
	v_subrev_co_u32_e32 v3, vcc, s16, v3
	v_mul_lo_u32 v5, v3, s17
	v_subbrev_co_u32_e32 v4, vcc, 0, v4, vcc
	v_and_b32_e32 v8, 0x3fff, v5
	s_branch .LBB65_25
.LBB65_23:                              ;   in Loop: Header=BB65_25 Depth=2
	s_or_b64 exec, exec, s[12:13]
	s_andn2_b64 s[8:9], s[8:9], exec
	s_and_b64 s[12:13], s[14:15], exec
	s_or_b64 s[8:9], s[8:9], s[12:13]
.LBB65_24:                              ;   in Loop: Header=BB65_25 Depth=2
	s_or_b64 exec, exec, s[10:11]
	s_xor_b64 s[10:11], s[8:9], -1
	s_and_b64 s[10:11], exec, s[10:11]
	s_or_b64 s[6:7], s[10:11], s[6:7]
	s_andn2_b64 exec, exec, s[6:7]
	s_cbranch_execz .LBB65_21
.LBB65_25:                              ;   Parent Loop BB65_22 Depth=1
                                        ; =>  This Inner Loop Header: Depth=2
	v_lshl_add_u32 v9, v8, 3, 0
	ds_read_b64 v[5:6], v9
	s_andn2_b64 s[8:9], s[8:9], exec
	s_waitcnt lgkmcnt(0)
	v_cmp_ne_u64_e32 vcc, v[5:6], v[3:4]
	s_and_saveexec_b64 s[10:11], vcc
	s_cbranch_execz .LBB65_24
; %bb.26:                               ;   in Loop: Header=BB65_25 Depth=2
	v_cmp_ne_u64_e32 vcc, s[36:37], v[5:6]
	s_and_saveexec_b64 s[12:13], vcc
	s_xor_b64 s[12:13], exec, s[12:13]
; %bb.27:                               ;   in Loop: Header=BB65_25 Depth=2
	v_add_u32_e32 v5, 1, v8
	v_and_b32_e32 v8, 0x3fff, v5
                                        ; implicit-def: $vgpr9
; %bb.28:                               ;   in Loop: Header=BB65_25 Depth=2
	s_or_saveexec_b64 s[12:13], s[12:13]
	s_mov_b64 s[14:15], -1
	s_xor_b64 exec, exec, s[12:13]
	s_cbranch_execz .LBB65_23
; %bb.29:                               ;   in Loop: Header=BB65_25 Depth=2
	v_mov_b32_e32 v5, s36
	v_mov_b32_e32 v6, s37
	ds_cmpst_rtn_b64 v[5:6], v9, v[5:6], v[3:4]
	s_waitcnt lgkmcnt(0)
	v_cmp_ne_u64_e32 vcc, s[36:37], v[5:6]
	s_orn2_b64 s[14:15], vcc, exec
	s_branch .LBB65_23
.LBB65_30:
	s_or_b64 exec, exec, s[2:3]
.LBB65_31:
	v_mbcnt_lo_u32_b32 v1, -1, 0
	v_mbcnt_hi_u32_b32 v1, -1, v1
	v_sub_u32_e32 v1, 63, v1
	v_lshrrev_b64 v[3:4], v1, -1
	s_add_i32 s33, 0, 0x20000
	s_movk_i32 s0, 0x3ff
	s_movk_i32 s2, 0x7f
	;; [unrolled: 1-line block ×15, first 2 shown]
	v_mov_b32_e32 v5, 0
	v_mov_b32_e32 v2, 0
	v_lshl_add_u32 v13, v13, 3, s33
	v_cmp_eq_u32_e32 vcc, s0, v0
	v_cmp_lt_u32_e64 s[0:1], 63, v0
	v_cmp_lt_u32_e64 s[2:3], s2, v0
	v_cmp_lt_u32_e64 s[4:5], s4, v0
	v_cmp_lt_u32_e64 s[6:7], s6, v0
	v_cmp_lt_u32_e64 s[8:9], s8, v0
	v_cmp_lt_u32_e64 s[10:11], s10, v0
	v_cmp_lt_u32_e64 s[12:13], s12, v0
	v_cmp_lt_u32_e64 s[14:15], s14, v0
	v_cmp_lt_u32_e64 s[16:17], s16, v0
	v_cmp_lt_u32_e64 s[18:19], s18, v0
	v_cmp_lt_u32_e64 s[20:21], s20, v0
	v_cmp_lt_u32_e64 s[22:23], s22, v0
	v_cmp_lt_u32_e64 s[24:25], s24, v0
	v_cmp_lt_u32_e64 s[26:27], s26, v0
	v_cmp_lt_u32_e64 s[28:29], s28, v0
	s_mov_b64 s[40:41], 0
	v_mov_b32_e32 v6, 0
	s_add_i32 s44, 0, 0x20008
	s_add_i32 s45, 0, 0x20010
	;; [unrolled: 1-line block ×15, first 2 shown]
	s_movk_i32 s62, 0x3bff
	s_waitcnt lgkmcnt(0)
	s_barrier
	s_branch .LBB65_33
.LBB65_32:                              ;   in Loop: Header=BB65_33 Depth=1
	s_or_b64 exec, exec, s[30:31]
	v_mov_b32_e32 v1, s61
	s_waitcnt lgkmcnt(0)
	s_barrier
	ds_read_b64 v[7:8], v1
	v_add_u32_e32 v11, 0x400, v11
	v_add_u32_e32 v12, 0x2000, v12
	s_waitcnt lgkmcnt(0)
	v_add_co_u32_e64 v5, s[30:31], v7, v5
	v_addc_co_u32_e64 v6, s[30:31], v8, v6, s[30:31]
	v_cmp_lt_u32_e64 s[30:31], s62, v11
	s_or_b64 s[40:41], s[30:31], s[40:41]
	s_andn2_b64 exec, exec, s[40:41]
	s_cbranch_execz .LBB65_67
.LBB65_33:                              ; =>This Inner Loop Header: Depth=1
	ds_read_b64 v[7:8], v12
	s_waitcnt lgkmcnt(0)
	s_barrier
	v_cmp_gt_i64_e64 s[30:31], s[36:37], v[7:8]
	v_and_b32_e32 v10, s30, v3
	s_bcnt1_i32_b64 s42, s[30:31]
	v_and_b32_e32 v9, s31, v4
	v_bcnt_u32_b32 v10, v10, 0
	v_mov_b32_e32 v1, s42
	v_bcnt_u32_b32 v9, v9, v10
	ds_write_b64 v13, v[1:2]
	s_waitcnt lgkmcnt(0)
	s_barrier
	s_and_saveexec_b64 s[42:43], s[0:1]
	s_cbranch_execnz .LBB65_50
; %bb.34:                               ;   in Loop: Header=BB65_33 Depth=1
	s_or_b64 exec, exec, s[42:43]
	s_and_saveexec_b64 s[42:43], s[2:3]
	s_cbranch_execnz .LBB65_51
.LBB65_35:                              ;   in Loop: Header=BB65_33 Depth=1
	s_or_b64 exec, exec, s[42:43]
	s_and_saveexec_b64 s[42:43], s[4:5]
	s_cbranch_execnz .LBB65_52
.LBB65_36:                              ;   in Loop: Header=BB65_33 Depth=1
	s_or_b64 exec, exec, s[42:43]
	s_and_saveexec_b64 s[42:43], s[6:7]
	s_cbranch_execnz .LBB65_53
.LBB65_37:                              ;   in Loop: Header=BB65_33 Depth=1
	s_or_b64 exec, exec, s[42:43]
	s_and_saveexec_b64 s[42:43], s[8:9]
	s_cbranch_execnz .LBB65_54
.LBB65_38:                              ;   in Loop: Header=BB65_33 Depth=1
	s_or_b64 exec, exec, s[42:43]
	s_and_saveexec_b64 s[42:43], s[10:11]
	s_cbranch_execnz .LBB65_55
.LBB65_39:                              ;   in Loop: Header=BB65_33 Depth=1
	s_or_b64 exec, exec, s[42:43]
	s_and_saveexec_b64 s[42:43], s[12:13]
	s_cbranch_execnz .LBB65_56
.LBB65_40:                              ;   in Loop: Header=BB65_33 Depth=1
	s_or_b64 exec, exec, s[42:43]
	s_and_saveexec_b64 s[42:43], s[14:15]
	s_cbranch_execnz .LBB65_57
.LBB65_41:                              ;   in Loop: Header=BB65_33 Depth=1
	s_or_b64 exec, exec, s[42:43]
	s_and_saveexec_b64 s[42:43], s[16:17]
	s_cbranch_execnz .LBB65_58
.LBB65_42:                              ;   in Loop: Header=BB65_33 Depth=1
	s_or_b64 exec, exec, s[42:43]
	s_and_saveexec_b64 s[42:43], s[18:19]
	s_cbranch_execnz .LBB65_59
.LBB65_43:                              ;   in Loop: Header=BB65_33 Depth=1
	s_or_b64 exec, exec, s[42:43]
	s_and_saveexec_b64 s[42:43], s[20:21]
	s_cbranch_execnz .LBB65_60
.LBB65_44:                              ;   in Loop: Header=BB65_33 Depth=1
	s_or_b64 exec, exec, s[42:43]
	s_and_saveexec_b64 s[42:43], s[22:23]
	s_cbranch_execnz .LBB65_61
.LBB65_45:                              ;   in Loop: Header=BB65_33 Depth=1
	s_or_b64 exec, exec, s[42:43]
	s_and_saveexec_b64 s[42:43], s[24:25]
	s_cbranch_execnz .LBB65_62
.LBB65_46:                              ;   in Loop: Header=BB65_33 Depth=1
	s_or_b64 exec, exec, s[42:43]
	s_and_saveexec_b64 s[42:43], s[26:27]
	s_cbranch_execnz .LBB65_63
.LBB65_47:                              ;   in Loop: Header=BB65_33 Depth=1
	s_or_b64 exec, exec, s[42:43]
	s_and_saveexec_b64 s[42:43], s[28:29]
	s_cbranch_execnz .LBB65_64
.LBB65_48:                              ;   in Loop: Header=BB65_33 Depth=1
	s_or_b64 exec, exec, s[42:43]
	v_ashrrev_i32_e32 v10, 31, v9
	s_and_saveexec_b64 s[42:43], s[30:31]
	s_cbranch_execnz .LBB65_65
.LBB65_49:                              ;   in Loop: Header=BB65_33 Depth=1
	s_or_b64 exec, exec, s[42:43]
	s_and_saveexec_b64 s[30:31], vcc
	s_cbranch_execz .LBB65_32
	s_branch .LBB65_66
.LBB65_50:                              ;   in Loop: Header=BB65_33 Depth=1
	v_mov_b32_e32 v1, s33
	ds_read_b32 v1, v1
	s_waitcnt lgkmcnt(0)
	v_add_u32_e32 v9, v1, v9
	s_or_b64 exec, exec, s[42:43]
	s_and_saveexec_b64 s[42:43], s[2:3]
	s_cbranch_execz .LBB65_35
.LBB65_51:                              ;   in Loop: Header=BB65_33 Depth=1
	v_mov_b32_e32 v1, s44
	ds_read_b32 v1, v1
	s_waitcnt lgkmcnt(0)
	v_add_u32_e32 v9, v9, v1
	s_or_b64 exec, exec, s[42:43]
	s_and_saveexec_b64 s[42:43], s[4:5]
	s_cbranch_execz .LBB65_36
.LBB65_52:                              ;   in Loop: Header=BB65_33 Depth=1
	v_mov_b32_e32 v1, s45
	ds_read_b32 v1, v1
	s_waitcnt lgkmcnt(0)
	v_add_u32_e32 v9, v9, v1
	s_or_b64 exec, exec, s[42:43]
	s_and_saveexec_b64 s[42:43], s[6:7]
	s_cbranch_execz .LBB65_37
.LBB65_53:                              ;   in Loop: Header=BB65_33 Depth=1
	v_mov_b32_e32 v1, s47
	ds_read_b32 v1, v1
	s_waitcnt lgkmcnt(0)
	v_add_u32_e32 v9, v9, v1
	s_or_b64 exec, exec, s[42:43]
	s_and_saveexec_b64 s[42:43], s[8:9]
	s_cbranch_execz .LBB65_38
.LBB65_54:                              ;   in Loop: Header=BB65_33 Depth=1
	v_mov_b32_e32 v1, s48
	ds_read_b32 v1, v1
	s_waitcnt lgkmcnt(0)
	v_add_u32_e32 v9, v9, v1
	s_or_b64 exec, exec, s[42:43]
	s_and_saveexec_b64 s[42:43], s[10:11]
	s_cbranch_execz .LBB65_39
.LBB65_55:                              ;   in Loop: Header=BB65_33 Depth=1
	v_mov_b32_e32 v1, s49
	ds_read_b32 v1, v1
	s_waitcnt lgkmcnt(0)
	v_add_u32_e32 v9, v9, v1
	s_or_b64 exec, exec, s[42:43]
	s_and_saveexec_b64 s[42:43], s[12:13]
	s_cbranch_execz .LBB65_40
.LBB65_56:                              ;   in Loop: Header=BB65_33 Depth=1
	v_mov_b32_e32 v1, s52
	ds_read_b32 v1, v1
	s_waitcnt lgkmcnt(0)
	v_add_u32_e32 v9, v9, v1
	s_or_b64 exec, exec, s[42:43]
	s_and_saveexec_b64 s[42:43], s[14:15]
	s_cbranch_execz .LBB65_41
.LBB65_57:                              ;   in Loop: Header=BB65_33 Depth=1
	v_mov_b32_e32 v1, s53
	ds_read_b32 v1, v1
	s_waitcnt lgkmcnt(0)
	v_add_u32_e32 v9, v9, v1
	s_or_b64 exec, exec, s[42:43]
	s_and_saveexec_b64 s[42:43], s[16:17]
	s_cbranch_execz .LBB65_42
.LBB65_58:                              ;   in Loop: Header=BB65_33 Depth=1
	v_mov_b32_e32 v1, s54
	ds_read_b32 v1, v1
	s_waitcnt lgkmcnt(0)
	v_add_u32_e32 v9, v9, v1
	s_or_b64 exec, exec, s[42:43]
	s_and_saveexec_b64 s[42:43], s[18:19]
	s_cbranch_execz .LBB65_43
.LBB65_59:                              ;   in Loop: Header=BB65_33 Depth=1
	v_mov_b32_e32 v1, s55
	ds_read_b32 v1, v1
	s_waitcnt lgkmcnt(0)
	v_add_u32_e32 v9, v9, v1
	s_or_b64 exec, exec, s[42:43]
	s_and_saveexec_b64 s[42:43], s[20:21]
	s_cbranch_execz .LBB65_44
.LBB65_60:                              ;   in Loop: Header=BB65_33 Depth=1
	v_mov_b32_e32 v1, s56
	ds_read_b32 v1, v1
	s_waitcnt lgkmcnt(0)
	v_add_u32_e32 v9, v9, v1
	s_or_b64 exec, exec, s[42:43]
	s_and_saveexec_b64 s[42:43], s[22:23]
	s_cbranch_execz .LBB65_45
.LBB65_61:                              ;   in Loop: Header=BB65_33 Depth=1
	v_mov_b32_e32 v1, s57
	ds_read_b32 v1, v1
	s_waitcnt lgkmcnt(0)
	v_add_u32_e32 v9, v9, v1
	s_or_b64 exec, exec, s[42:43]
	s_and_saveexec_b64 s[42:43], s[24:25]
	s_cbranch_execz .LBB65_46
.LBB65_62:                              ;   in Loop: Header=BB65_33 Depth=1
	v_mov_b32_e32 v1, s58
	ds_read_b32 v1, v1
	s_waitcnt lgkmcnt(0)
	v_add_u32_e32 v9, v9, v1
	s_or_b64 exec, exec, s[42:43]
	s_and_saveexec_b64 s[42:43], s[26:27]
	s_cbranch_execz .LBB65_47
.LBB65_63:                              ;   in Loop: Header=BB65_33 Depth=1
	v_mov_b32_e32 v1, s59
	ds_read_b32 v1, v1
	s_waitcnt lgkmcnt(0)
	v_add_u32_e32 v9, v9, v1
	s_or_b64 exec, exec, s[42:43]
	s_and_saveexec_b64 s[42:43], s[28:29]
	s_cbranch_execz .LBB65_48
.LBB65_64:                              ;   in Loop: Header=BB65_33 Depth=1
	v_mov_b32_e32 v1, s60
	ds_read_b32 v1, v1
	s_waitcnt lgkmcnt(0)
	v_add_u32_e32 v9, v9, v1
	s_or_b64 exec, exec, s[42:43]
	v_ashrrev_i32_e32 v10, 31, v9
	s_and_saveexec_b64 s[42:43], s[30:31]
	s_cbranch_execz .LBB65_49
.LBB65_65:                              ;   in Loop: Header=BB65_33 Depth=1
	v_lshlrev_b32_e32 v1, 3, v5
	v_add_u32_e32 v1, 0, v1
	v_lshlrev_b32_e32 v14, 3, v9
	v_add3_u32 v1, v1, v14, -8
	ds_write_b64 v1, v[7:8]
	s_or_b64 exec, exec, s[42:43]
	s_and_saveexec_b64 s[30:31], vcc
	s_cbranch_execz .LBB65_32
.LBB65_66:                              ;   in Loop: Header=BB65_33 Depth=1
	v_mov_b32_e32 v1, s61
	ds_write_b64 v1, v[9:10]
	s_branch .LBB65_32
.LBB65_67:
	s_or_b64 exec, exec, s[40:41]
	s_lshl_b64 s[0:1], s[38:39], 3
	s_add_u32 s4, s50, s0
	s_addc_u32 s5, s51, s1
	s_load_dwordx4 s[0:3], s[4:5], 0x0
	v_mov_b32_e32 v1, 0
	s_waitcnt lgkmcnt(0)
	s_sub_u32 s4, s2, s0
	s_subb_u32 s5, s3, s1
	v_cmp_gt_i64_e32 vcc, s[4:5], v[0:1]
	s_and_saveexec_b64 s[6:7], vcc
	s_cbranch_execz .LBB65_77
; %bb.68:
	s_sub_u32 s8, s0, s46
	s_subb_u32 s9, s1, 0
	s_and_b32 s6, s4, 7
	s_sub_u32 s0, s0, s2
	s_subb_u32 s1, s1, s3
	v_cmp_lt_u64_e64 s[0:1], s[0:1], -7
	s_mov_b32 s7, 0
	s_and_b32 s10, s4, -8
	s_cmp_lg_u64 s[6:7], 0
	v_cndmask_b32_e64 v2, 0, 1, s[0:1]
	s_mov_b32 s11, s5
	s_mov_b64 s[12:13], 0
	s_cselect_b64 s[14:15], -1, 0
	v_cmp_ne_u32_e64 s[0:1], 1, v2
	s_branch .LBB65_70
.LBB65_69:                              ;   in Loop: Header=BB65_70 Depth=1
	s_waitcnt lgkmcnt(0)
	v_add_co_u32_e32 v2, vcc, s46, v2
	v_addc_co_u32_e32 v3, vcc, 0, v3, vcc
	v_add_co_u32_e32 v0, vcc, 0x400, v0
	v_lshlrev_b64 v[4:5], 3, v[4:5]
	v_addc_co_u32_e32 v1, vcc, 0, v1, vcc
	v_cmp_le_i64_e32 vcc, s[4:5], v[0:1]
	v_mov_b32_e32 v6, s35
	v_add_co_u32_e64 v4, s[2:3], s34, v4
	v_addc_co_u32_e64 v5, s[2:3], v6, v5, s[2:3]
	s_or_b64 s[12:13], vcc, s[12:13]
	global_store_dwordx2 v[4:5], v[2:3], off
	s_andn2_b64 exec, exec, s[12:13]
	s_cbranch_execz .LBB65_77
.LBB65_70:                              ; =>This Loop Header: Depth=1
                                        ;     Child Loop BB65_72 Depth 2
                                        ;     Child Loop BB65_76 Depth 2
	v_lshl_add_u32 v2, v0, 3, 0
	ds_read_b64 v[2:3], v2
	v_mov_b32_e32 v4, s8
	s_and_b64 vcc, exec, s[0:1]
	v_mov_b32_e32 v5, s9
	s_mov_b64 s[2:3], 0
	s_cbranch_vccnz .LBB65_74
; %bb.71:                               ;   in Loop: Header=BB65_70 Depth=1
	v_mov_b32_e32 v4, s8
	s_mov_b64 s[16:17], 0
	s_mov_b32 s18, 0
	v_mov_b32_e32 v5, s9
.LBB65_72:                              ;   Parent Loop BB65_70 Depth=1
                                        ; =>  This Inner Loop Header: Depth=2
	v_mov_b32_e32 v18, s18
	ds_read2_b64 v[6:9], v18 offset1:1
	ds_read2_b64 v[10:13], v18 offset0:2 offset1:3
	ds_read2_b64 v[14:17], v18 offset0:4 offset1:5
	;; [unrolled: 1-line block ×3, first 2 shown]
	s_add_u32 s16, s16, 8
	s_waitcnt lgkmcnt(3)
	v_cmp_gt_i64_e32 vcc, v[2:3], v[8:9]
	v_cmp_gt_i64_e64 s[2:3], v[2:3], v[6:7]
	v_cndmask_b32_e64 v7, 0, 1, vcc
	s_waitcnt lgkmcnt(2)
	v_cmp_gt_i64_e32 vcc, v[2:3], v[10:11]
	v_cndmask_b32_e64 v6, 0, 1, s[2:3]
	v_cndmask_b32_e64 v8, 0, 1, vcc
	v_cmp_gt_i64_e32 vcc, v[2:3], v[12:13]
	s_addc_u32 s17, s17, 0
	v_cndmask_b32_e64 v9, 0, 1, vcc
	s_waitcnt lgkmcnt(1)
	v_cmp_gt_i64_e32 vcc, v[2:3], v[14:15]
	s_add_i32 s18, s18, 64
	v_cndmask_b32_e64 v10, 0, 1, vcc
	v_cmp_gt_i64_e32 vcc, v[2:3], v[16:17]
	s_cmp_eq_u64 s[10:11], s[16:17]
	v_cndmask_b32_e64 v11, 0, 1, vcc
	s_waitcnt lgkmcnt(0)
	v_cmp_gt_i64_e32 vcc, v[2:3], v[18:19]
	v_cndmask_b32_e64 v12, 0, 1, vcc
	v_cmp_gt_i64_e32 vcc, v[2:3], v[20:21]
	v_cndmask_b32_e64 v13, 0, 1, vcc
	v_add_co_u32_e32 v4, vcc, v4, v6
	v_addc_co_u32_e32 v5, vcc, 0, v5, vcc
	v_add_co_u32_e32 v4, vcc, v4, v7
	v_addc_co_u32_e32 v5, vcc, 0, v5, vcc
	;; [unrolled: 2-line block ×8, first 2 shown]
	s_cbranch_scc0 .LBB65_72
; %bb.73:                               ;   in Loop: Header=BB65_70 Depth=1
	s_mov_b64 s[2:3], s[10:11]
.LBB65_74:                              ;   in Loop: Header=BB65_70 Depth=1
	s_andn2_b64 vcc, exec, s[14:15]
	s_cbranch_vccnz .LBB65_69
; %bb.75:                               ;   in Loop: Header=BB65_70 Depth=1
	s_lshl_b32 s2, s2, 3
	s_add_i32 s16, s2, 0
	s_mov_b64 s[2:3], s[6:7]
.LBB65_76:                              ;   Parent Loop BB65_70 Depth=1
                                        ; =>  This Inner Loop Header: Depth=2
	v_mov_b32_e32 v6, s16
	ds_read_b64 v[6:7], v6
	s_add_i32 s16, s16, 8
	s_add_u32 s2, s2, -1
	s_addc_u32 s3, s3, -1
	s_cmp_lg_u64 s[2:3], 0
	s_waitcnt lgkmcnt(0)
	v_cmp_gt_i64_e32 vcc, v[2:3], v[6:7]
	v_cndmask_b32_e64 v6, 0, 1, vcc
	v_add_co_u32_e32 v4, vcc, v4, v6
	v_addc_co_u32_e32 v5, vcc, 0, v5, vcc
	s_cbranch_scc1 .LBB65_76
	s_branch .LBB65_69
.LBB65_77:
	s_endpgm
	.section	.rodata,"a",@progbits
	.p2align	6, 0x0
	.amdhsa_kernel _ZN9rocsparseL35csrgemm_symbolic_fill_block_per_rowILj1024ELj64ELj16384ELj137ELj64EllEEvT5_PKS1_S3_PKT4_S3_S6_S3_S6_S3_S6_PS1_21rocsparse_index_base_S8_S8_S8_bb
		.amdhsa_group_segment_fixed_size 0
		.amdhsa_private_segment_fixed_size 0
		.amdhsa_kernarg_size 108
		.amdhsa_user_sgpr_count 6
		.amdhsa_user_sgpr_private_segment_buffer 1
		.amdhsa_user_sgpr_dispatch_ptr 0
		.amdhsa_user_sgpr_queue_ptr 0
		.amdhsa_user_sgpr_kernarg_segment_ptr 1
		.amdhsa_user_sgpr_dispatch_id 0
		.amdhsa_user_sgpr_flat_scratch_init 0
		.amdhsa_user_sgpr_private_segment_size 0
		.amdhsa_uses_dynamic_stack 0
		.amdhsa_system_sgpr_private_segment_wavefront_offset 0
		.amdhsa_system_sgpr_workgroup_id_x 1
		.amdhsa_system_sgpr_workgroup_id_y 0
		.amdhsa_system_sgpr_workgroup_id_z 0
		.amdhsa_system_sgpr_workgroup_info 0
		.amdhsa_system_vgpr_workitem_id 0
		.amdhsa_next_free_vgpr 22
		.amdhsa_next_free_sgpr 63
		.amdhsa_reserve_vcc 1
		.amdhsa_reserve_flat_scratch 0
		.amdhsa_float_round_mode_32 0
		.amdhsa_float_round_mode_16_64 0
		.amdhsa_float_denorm_mode_32 3
		.amdhsa_float_denorm_mode_16_64 3
		.amdhsa_dx10_clamp 1
		.amdhsa_ieee_mode 1
		.amdhsa_fp16_overflow 0
		.amdhsa_exception_fp_ieee_invalid_op 0
		.amdhsa_exception_fp_denorm_src 0
		.amdhsa_exception_fp_ieee_div_zero 0
		.amdhsa_exception_fp_ieee_overflow 0
		.amdhsa_exception_fp_ieee_underflow 0
		.amdhsa_exception_fp_ieee_inexact 0
		.amdhsa_exception_int_div_zero 0
	.end_amdhsa_kernel
	.section	.text._ZN9rocsparseL35csrgemm_symbolic_fill_block_per_rowILj1024ELj64ELj16384ELj137ELj64EllEEvT5_PKS1_S3_PKT4_S3_S6_S3_S6_S3_S6_PS1_21rocsparse_index_base_S8_S8_S8_bb,"axG",@progbits,_ZN9rocsparseL35csrgemm_symbolic_fill_block_per_rowILj1024ELj64ELj16384ELj137ELj64EllEEvT5_PKS1_S3_PKT4_S3_S6_S3_S6_S3_S6_PS1_21rocsparse_index_base_S8_S8_S8_bb,comdat
.Lfunc_end65:
	.size	_ZN9rocsparseL35csrgemm_symbolic_fill_block_per_rowILj1024ELj64ELj16384ELj137ELj64EllEEvT5_PKS1_S3_PKT4_S3_S6_S3_S6_S3_S6_PS1_21rocsparse_index_base_S8_S8_S8_bb, .Lfunc_end65-_ZN9rocsparseL35csrgemm_symbolic_fill_block_per_rowILj1024ELj64ELj16384ELj137ELj64EllEEvT5_PKS1_S3_PKT4_S3_S6_S3_S6_S3_S6_PS1_21rocsparse_index_base_S8_S8_S8_bb
                                        ; -- End function
	.set _ZN9rocsparseL35csrgemm_symbolic_fill_block_per_rowILj1024ELj64ELj16384ELj137ELj64EllEEvT5_PKS1_S3_PKT4_S3_S6_S3_S6_S3_S6_PS1_21rocsparse_index_base_S8_S8_S8_bb.num_vgpr, 22
	.set _ZN9rocsparseL35csrgemm_symbolic_fill_block_per_rowILj1024ELj64ELj16384ELj137ELj64EllEEvT5_PKS1_S3_PKT4_S3_S6_S3_S6_S3_S6_PS1_21rocsparse_index_base_S8_S8_S8_bb.num_agpr, 0
	.set _ZN9rocsparseL35csrgemm_symbolic_fill_block_per_rowILj1024ELj64ELj16384ELj137ELj64EllEEvT5_PKS1_S3_PKT4_S3_S6_S3_S6_S3_S6_PS1_21rocsparse_index_base_S8_S8_S8_bb.numbered_sgpr, 63
	.set _ZN9rocsparseL35csrgemm_symbolic_fill_block_per_rowILj1024ELj64ELj16384ELj137ELj64EllEEvT5_PKS1_S3_PKT4_S3_S6_S3_S6_S3_S6_PS1_21rocsparse_index_base_S8_S8_S8_bb.num_named_barrier, 0
	.set _ZN9rocsparseL35csrgemm_symbolic_fill_block_per_rowILj1024ELj64ELj16384ELj137ELj64EllEEvT5_PKS1_S3_PKT4_S3_S6_S3_S6_S3_S6_PS1_21rocsparse_index_base_S8_S8_S8_bb.private_seg_size, 0
	.set _ZN9rocsparseL35csrgemm_symbolic_fill_block_per_rowILj1024ELj64ELj16384ELj137ELj64EllEEvT5_PKS1_S3_PKT4_S3_S6_S3_S6_S3_S6_PS1_21rocsparse_index_base_S8_S8_S8_bb.uses_vcc, 1
	.set _ZN9rocsparseL35csrgemm_symbolic_fill_block_per_rowILj1024ELj64ELj16384ELj137ELj64EllEEvT5_PKS1_S3_PKT4_S3_S6_S3_S6_S3_S6_PS1_21rocsparse_index_base_S8_S8_S8_bb.uses_flat_scratch, 0
	.set _ZN9rocsparseL35csrgemm_symbolic_fill_block_per_rowILj1024ELj64ELj16384ELj137ELj64EllEEvT5_PKS1_S3_PKT4_S3_S6_S3_S6_S3_S6_PS1_21rocsparse_index_base_S8_S8_S8_bb.has_dyn_sized_stack, 0
	.set _ZN9rocsparseL35csrgemm_symbolic_fill_block_per_rowILj1024ELj64ELj16384ELj137ELj64EllEEvT5_PKS1_S3_PKT4_S3_S6_S3_S6_S3_S6_PS1_21rocsparse_index_base_S8_S8_S8_bb.has_recursion, 0
	.set _ZN9rocsparseL35csrgemm_symbolic_fill_block_per_rowILj1024ELj64ELj16384ELj137ELj64EllEEvT5_PKS1_S3_PKT4_S3_S6_S3_S6_S3_S6_PS1_21rocsparse_index_base_S8_S8_S8_bb.has_indirect_call, 0
	.section	.AMDGPU.csdata,"",@progbits
; Kernel info:
; codeLenInByte = 2904
; TotalNumSgprs: 67
; NumVgprs: 22
; ScratchSize: 0
; MemoryBound: 0
; FloatMode: 240
; IeeeMode: 1
; LDSByteSize: 0 bytes/workgroup (compile time only)
; SGPRBlocks: 8
; VGPRBlocks: 5
; NumSGPRsForWavesPerEU: 67
; NumVGPRsForWavesPerEU: 22
; Occupancy: 10
; WaveLimiterHint : 1
; COMPUTE_PGM_RSRC2:SCRATCH_EN: 0
; COMPUTE_PGM_RSRC2:USER_SGPR: 6
; COMPUTE_PGM_RSRC2:TRAP_HANDLER: 0
; COMPUTE_PGM_RSRC2:TGID_X_EN: 1
; COMPUTE_PGM_RSRC2:TGID_Y_EN: 0
; COMPUTE_PGM_RSRC2:TGID_Z_EN: 0
; COMPUTE_PGM_RSRC2:TIDIG_COMP_CNT: 0
	.section	.text._ZN9rocsparseL35csrgemm_symbolic_fill_block_per_rowILj1024ELj64ELj32768ELj137ELj32EllEEvT5_PKS1_S3_PKT4_S3_S6_S3_S6_S3_S6_PS1_21rocsparse_index_base_S8_S8_S8_bb,"axG",@progbits,_ZN9rocsparseL35csrgemm_symbolic_fill_block_per_rowILj1024ELj64ELj32768ELj137ELj32EllEEvT5_PKS1_S3_PKT4_S3_S6_S3_S6_S3_S6_PS1_21rocsparse_index_base_S8_S8_S8_bb,comdat
	.globl	_ZN9rocsparseL35csrgemm_symbolic_fill_block_per_rowILj1024ELj64ELj32768ELj137ELj32EllEEvT5_PKS1_S3_PKT4_S3_S6_S3_S6_S3_S6_PS1_21rocsparse_index_base_S8_S8_S8_bb ; -- Begin function _ZN9rocsparseL35csrgemm_symbolic_fill_block_per_rowILj1024ELj64ELj32768ELj137ELj32EllEEvT5_PKS1_S3_PKT4_S3_S6_S3_S6_S3_S6_PS1_21rocsparse_index_base_S8_S8_S8_bb
	.p2align	8
	.type	_ZN9rocsparseL35csrgemm_symbolic_fill_block_per_rowILj1024ELj64ELj32768ELj137ELj32EllEEvT5_PKS1_S3_PKT4_S3_S6_S3_S6_S3_S6_PS1_21rocsparse_index_base_S8_S8_S8_bb,@function
_ZN9rocsparseL35csrgemm_symbolic_fill_block_per_rowILj1024ELj64ELj32768ELj137ELj32EllEEvT5_PKS1_S3_PKT4_S3_S6_S3_S6_S3_S6_PS1_21rocsparse_index_base_S8_S8_S8_bb: ; @_ZN9rocsparseL35csrgemm_symbolic_fill_block_per_rowILj1024ELj64ELj32768ELj137ELj32EllEEvT5_PKS1_S3_PKT4_S3_S6_S3_S6_S3_S6_PS1_21rocsparse_index_base_S8_S8_S8_bb
; %bb.0:
	s_load_dwordx2 s[0:1], s[4:5], 0x50
                                        ; implicit-def: $vgpr22 : SGPR spill to VGPR lane
	s_load_dwordx8 s[68:75], s[4:5], 0x0
	s_load_dwordx8 s[8:15], s[4:5], 0x20
	v_or_b32_e32 v11, 0xfffffc00, v0
	v_lshl_add_u32 v12, v0, 3, 0
	v_mov_b32_e32 v3, v12
	s_waitcnt lgkmcnt(0)
	v_writelane_b32 v22, s0, 0
	v_writelane_b32 v22, s1, 1
	s_load_dwordx4 s[0:3], s[4:5], 0x40
	v_mov_b32_e32 v1, s68
	v_mov_b32_e32 v2, s69
	;; [unrolled: 1-line block ×3, first 2 shown]
	s_waitcnt lgkmcnt(0)
	v_writelane_b32 v22, s0, 2
	v_writelane_b32 v22, s1, 3
	;; [unrolled: 1-line block ×4, first 2 shown]
	s_mov_b64 s[0:1], 0
	s_movk_i32 s2, 0x7bff
.LBB66_1:                               ; =>This Inner Loop Header: Depth=1
	v_add_u32_e32 v4, 0x400, v4
	v_cmp_lt_u32_e32 vcc, s2, v4
	ds_write_b64 v3, v[1:2]
	s_or_b64 s[0:1], vcc, s[0:1]
	v_add_u32_e32 v3, 0x2000, v3
	s_andn2_b64 exec, exec, s[0:1]
	s_cbranch_execnz .LBB66_1
; %bb.2:
	s_or_b64 exec, exec, s[0:1]
	s_load_dword s28, s[4:5], 0x68
	s_waitcnt lgkmcnt(0)
	s_barrier
	s_load_dwordx2 s[0:1], s[70:71], 0x0
	s_load_dwordx4 s[36:39], s[4:5], 0x58
	s_bitcmp1_b32 s28, 0
	s_cselect_b64 s[2:3], -1, 0
	s_mov_b32 s7, 0
	s_waitcnt lgkmcnt(0)
	s_lshl_b64 s[0:1], s[0:1], 3
	s_add_u32 s4, s72, s0
	s_addc_u32 s5, s73, s1
	s_lshl_b64 s[0:1], s[6:7], 3
	s_add_u32 s0, s4, s0
	s_addc_u32 s1, s5, s1
	s_load_dwordx2 s[30:31], s[0:1], 0x0
	s_and_b64 vcc, exec, s[2:3]
	s_cbranch_vccz .LBB66_18
; %bb.3:
	s_waitcnt lgkmcnt(0)
	s_lshl_b64 s[0:1], s[30:31], 3
	s_add_u32 s0, s74, s0
	s_addc_u32 s1, s75, s1
	s_load_dwordx4 s[4:7], s[0:1], 0x0
	v_lshrrev_b32_e32 v1, 6, v0
	v_subrev_co_u32_e32 v1, vcc, s36, v1
	v_subb_co_u32_e64 v2, s[2:3], 0, 0, vcc
	s_waitcnt lgkmcnt(0)
	s_sub_u32 s0, s6, s36
	v_mov_b32_e32 v3, s5
	v_add_co_u32_e32 v1, vcc, s4, v1
	s_subb_u32 s1, s7, 0
	v_addc_co_u32_e32 v2, vcc, v3, v2, vcc
	v_cmp_gt_i64_e32 vcc, s[0:1], v[1:2]
	s_and_saveexec_b64 s[2:3], vcc
	s_cbranch_execz .LBB66_17
; %bb.4:
	v_and_b32_e32 v3, 63, v0
	v_subrev_co_u32_e32 v13, vcc, s37, v3
	v_subb_co_u32_e64 v14, s[4:5], 0, 0, vcc
	s_mov_b32 s29, s37
	s_mov_b64 s[4:5], 0
	v_mov_b32_e32 v15, s9
	v_mov_b32_e32 v16, s11
	s_movk_i32 s9, 0x89
	s_branch .LBB66_6
.LBB66_5:                               ;   in Loop: Header=BB66_6 Depth=1
	s_or_b64 exec, exec, s[6:7]
	v_add_co_u32_e32 v1, vcc, 16, v1
	v_addc_co_u32_e32 v2, vcc, 0, v2, vcc
	v_cmp_le_i64_e32 vcc, s[0:1], v[1:2]
	s_or_b64 s[4:5], vcc, s[4:5]
	s_andn2_b64 exec, exec, s[4:5]
	s_cbranch_execz .LBB66_17
.LBB66_6:                               ; =>This Loop Header: Depth=1
                                        ;     Child Loop BB66_9 Depth 2
                                        ;       Child Loop BB66_12 Depth 3
	v_lshlrev_b64 v[3:4], 3, v[1:2]
	v_add_co_u32_e32 v3, vcc, s8, v3
	v_addc_co_u32_e32 v4, vcc, v15, v4, vcc
	global_load_dwordx2 v[3:4], v[3:4], off
	s_waitcnt vmcnt(0)
	v_subrev_co_u32_e32 v3, vcc, s36, v3
	v_subbrev_co_u32_e32 v4, vcc, 0, v4, vcc
	v_lshlrev_b64 v[3:4], 3, v[3:4]
	v_add_co_u32_e32 v3, vcc, s10, v3
	v_addc_co_u32_e32 v4, vcc, v16, v4, vcc
	global_load_dwordx4 v[5:8], v[3:4], off
	s_waitcnt vmcnt(0)
	v_subrev_co_u32_e32 v3, vcc, s29, v7
	v_subbrev_co_u32_e32 v4, vcc, 0, v8, vcc
	v_add_co_u32_e32 v5, vcc, v5, v13
	v_addc_co_u32_e32 v6, vcc, v6, v14, vcc
	v_cmp_lt_i64_e32 vcc, v[5:6], v[3:4]
	s_and_saveexec_b64 s[6:7], vcc
	s_cbranch_execz .LBB66_5
; %bb.7:                                ;   in Loop: Header=BB66_6 Depth=1
	s_mov_b64 s[16:17], 0
	s_branch .LBB66_9
.LBB66_8:                               ;   in Loop: Header=BB66_9 Depth=2
	s_or_b64 exec, exec, s[18:19]
	v_add_co_u32_e32 v5, vcc, 64, v5
	v_addc_co_u32_e32 v6, vcc, 0, v6, vcc
	v_cmp_ge_i64_e32 vcc, v[5:6], v[3:4]
	s_or_b64 s[16:17], vcc, s[16:17]
	s_andn2_b64 exec, exec, s[16:17]
	s_cbranch_execz .LBB66_5
.LBB66_9:                               ;   Parent Loop BB66_6 Depth=1
                                        ; =>  This Loop Header: Depth=2
                                        ;       Child Loop BB66_12 Depth 3
	v_lshlrev_b64 v[7:8], 3, v[5:6]
	v_mov_b32_e32 v9, s13
	v_add_co_u32_e32 v7, vcc, s12, v7
	v_addc_co_u32_e32 v8, vcc, v9, v8, vcc
	global_load_dwordx2 v[7:8], v[7:8], off
	s_mov_b64 s[18:19], 0
                                        ; implicit-def: $sgpr20_sgpr21
	s_waitcnt vmcnt(0)
	v_subrev_co_u32_e32 v7, vcc, s29, v7
	v_mul_lo_u32 v9, v7, s9
	v_subbrev_co_u32_e32 v8, vcc, 0, v8, vcc
	v_and_b32_e32 v17, 0x7fff, v9
	s_branch .LBB66_12
.LBB66_10:                              ;   in Loop: Header=BB66_12 Depth=3
	s_or_b64 exec, exec, s[24:25]
	s_andn2_b64 s[20:21], s[20:21], exec
	s_and_b64 s[24:25], s[26:27], exec
	s_or_b64 s[20:21], s[20:21], s[24:25]
.LBB66_11:                              ;   in Loop: Header=BB66_12 Depth=3
	s_or_b64 exec, exec, s[22:23]
	s_xor_b64 s[22:23], s[20:21], -1
	s_and_b64 s[22:23], exec, s[22:23]
	s_or_b64 s[18:19], s[22:23], s[18:19]
	s_andn2_b64 exec, exec, s[18:19]
	s_cbranch_execz .LBB66_8
.LBB66_12:                              ;   Parent Loop BB66_6 Depth=1
                                        ;     Parent Loop BB66_9 Depth=2
                                        ; =>    This Inner Loop Header: Depth=3
	v_lshl_add_u32 v18, v17, 3, 0
	ds_read_b64 v[9:10], v18
	s_andn2_b64 s[20:21], s[20:21], exec
	s_waitcnt lgkmcnt(0)
	v_cmp_ne_u64_e32 vcc, v[9:10], v[7:8]
	s_and_saveexec_b64 s[22:23], vcc
	s_cbranch_execz .LBB66_11
; %bb.13:                               ;   in Loop: Header=BB66_12 Depth=3
	v_cmp_ne_u64_e32 vcc, s[68:69], v[9:10]
	s_and_saveexec_b64 s[24:25], vcc
	s_xor_b64 s[24:25], exec, s[24:25]
; %bb.14:                               ;   in Loop: Header=BB66_12 Depth=3
	v_add_u32_e32 v9, 1, v17
	v_and_b32_e32 v17, 0x7fff, v9
                                        ; implicit-def: $vgpr18
; %bb.15:                               ;   in Loop: Header=BB66_12 Depth=3
	s_or_saveexec_b64 s[24:25], s[24:25]
	s_mov_b64 s[26:27], -1
	s_xor_b64 exec, exec, s[24:25]
	s_cbranch_execz .LBB66_10
; %bb.16:                               ;   in Loop: Header=BB66_12 Depth=3
	v_mov_b32_e32 v9, s68
	v_mov_b32_e32 v10, s69
	ds_cmpst_rtn_b64 v[9:10], v18, v[9:10], v[7:8]
	s_waitcnt lgkmcnt(0)
	v_cmp_ne_u64_e32 vcc, s[68:69], v[9:10]
	s_orn2_b64 s[26:27], vcc, exec
	s_branch .LBB66_10
.LBB66_17:
	s_or_b64 exec, exec, s[2:3]
.LBB66_18:
	s_bfe_u32 s0, s28, 0x10008
	s_cmp_eq_u32 s0, 0
	s_cbranch_scc1 .LBB66_31
; %bb.19:
	s_waitcnt lgkmcnt(0)
	s_lshl_b64 s[0:1], s[30:31], 3
	s_add_u32 s0, s14, s0
	s_addc_u32 s1, s15, s1
	s_load_dwordx4 s[4:7], s[0:1], 0x0
	v_subrev_co_u32_e32 v1, vcc, s39, v0
	v_subb_co_u32_e64 v2, s[0:1], 0, 0, vcc
	s_waitcnt lgkmcnt(0)
	s_sub_u32 s0, s6, s39
	v_mov_b32_e32 v3, s5
	v_add_co_u32_e32 v1, vcc, s4, v1
	s_subb_u32 s1, s7, 0
	v_addc_co_u32_e32 v2, vcc, v3, v2, vcc
	v_cmp_gt_i64_e32 vcc, s[0:1], v[1:2]
	s_and_saveexec_b64 s[2:3], vcc
	s_cbranch_execz .LBB66_30
; %bb.20:
	v_readlane_b32 s8, v22, 2
	v_readlane_b32 s9, v22, 3
	s_mov_b32 s16, s39
	s_mov_b64 s[4:5], 0
	v_mov_b32_e32 v7, s9
	s_movk_i32 s17, 0x89
	v_readlane_b32 s10, v22, 4
	v_readlane_b32 s11, v22, 5
	s_branch .LBB66_22
.LBB66_21:                              ;   in Loop: Header=BB66_22 Depth=1
	s_or_b64 exec, exec, s[6:7]
	v_add_co_u32_e32 v1, vcc, 0x400, v1
	v_addc_co_u32_e32 v2, vcc, 0, v2, vcc
	v_cmp_le_i64_e32 vcc, s[0:1], v[1:2]
	s_or_b64 s[4:5], vcc, s[4:5]
	s_andn2_b64 exec, exec, s[4:5]
	s_cbranch_execz .LBB66_30
.LBB66_22:                              ; =>This Loop Header: Depth=1
                                        ;     Child Loop BB66_25 Depth 2
	v_lshlrev_b64 v[3:4], 3, v[1:2]
	v_readlane_b32 s8, v22, 2
	v_add_co_u32_e32 v3, vcc, s8, v3
	v_addc_co_u32_e32 v4, vcc, v7, v4, vcc
	global_load_dwordx2 v[3:4], v[3:4], off
	v_readlane_b32 s9, v22, 3
	s_mov_b64 s[6:7], 0
	v_readlane_b32 s10, v22, 4
	v_readlane_b32 s11, v22, 5
                                        ; implicit-def: $sgpr8_sgpr9
	s_waitcnt vmcnt(0)
	v_subrev_co_u32_e32 v3, vcc, s16, v3
	v_mul_lo_u32 v5, v3, s17
	v_subbrev_co_u32_e32 v4, vcc, 0, v4, vcc
	v_and_b32_e32 v8, 0x7fff, v5
	s_branch .LBB66_25
.LBB66_23:                              ;   in Loop: Header=BB66_25 Depth=2
	s_or_b64 exec, exec, s[12:13]
	s_andn2_b64 s[8:9], s[8:9], exec
	s_and_b64 s[12:13], s[14:15], exec
	s_or_b64 s[8:9], s[8:9], s[12:13]
.LBB66_24:                              ;   in Loop: Header=BB66_25 Depth=2
	s_or_b64 exec, exec, s[10:11]
	s_xor_b64 s[10:11], s[8:9], -1
	s_and_b64 s[10:11], exec, s[10:11]
	s_or_b64 s[6:7], s[10:11], s[6:7]
	s_andn2_b64 exec, exec, s[6:7]
	s_cbranch_execz .LBB66_21
.LBB66_25:                              ;   Parent Loop BB66_22 Depth=1
                                        ; =>  This Inner Loop Header: Depth=2
	v_lshl_add_u32 v9, v8, 3, 0
	ds_read_b64 v[5:6], v9
	s_andn2_b64 s[8:9], s[8:9], exec
	s_waitcnt lgkmcnt(0)
	v_cmp_ne_u64_e32 vcc, v[5:6], v[3:4]
	s_and_saveexec_b64 s[10:11], vcc
	s_cbranch_execz .LBB66_24
; %bb.26:                               ;   in Loop: Header=BB66_25 Depth=2
	v_cmp_ne_u64_e32 vcc, s[68:69], v[5:6]
	s_and_saveexec_b64 s[12:13], vcc
	s_xor_b64 s[12:13], exec, s[12:13]
; %bb.27:                               ;   in Loop: Header=BB66_25 Depth=2
	v_add_u32_e32 v5, 1, v8
	v_and_b32_e32 v8, 0x7fff, v5
                                        ; implicit-def: $vgpr9
; %bb.28:                               ;   in Loop: Header=BB66_25 Depth=2
	s_or_saveexec_b64 s[12:13], s[12:13]
	s_mov_b64 s[14:15], -1
	s_xor_b64 exec, exec, s[12:13]
	s_cbranch_execz .LBB66_23
; %bb.29:                               ;   in Loop: Header=BB66_25 Depth=2
	v_mov_b32_e32 v5, s68
	v_mov_b32_e32 v6, s69
	ds_cmpst_rtn_b64 v[5:6], v9, v[5:6], v[3:4]
	s_waitcnt lgkmcnt(0)
	v_cmp_ne_u64_e32 vcc, s[68:69], v[5:6]
	s_orn2_b64 s[14:15], vcc, exec
	s_branch .LBB66_23
.LBB66_30:
	s_or_b64 exec, exec, s[2:3]
.LBB66_31:
	s_waitcnt lgkmcnt(0)
	v_writelane_b32 v22, s30, 6
	v_writelane_b32 v22, s31, 7
	;; [unrolled: 1-line block ×4, first 2 shown]
	s_movk_i32 s33, 0x25f
	v_writelane_b32 v22, s38, 10
	v_cmp_lt_u32_e64 s[34:35], s33, v0
	s_movk_i32 s33, 0x27f
	v_writelane_b32 v22, s39, 11
	v_cmp_lt_u32_e64 s[36:37], s33, v0
	s_movk_i32 s33, 0x29f
	v_cmp_lt_u32_e64 s[38:39], s33, v0
	s_movk_i32 s33, 0x2bf
	;; [unrolled: 2-line block ×10, first 2 shown]
	s_add_i32 s0, 0, 0x40000
	v_cmp_lt_u32_e64 s[56:57], s33, v0
	s_movk_i32 s33, 0x3df
	v_writelane_b32 v22, s0, 12
	v_cmp_lt_u32_e64 s[58:59], s33, v0
	s_add_i32 s33, 0, 0x40008
	v_mbcnt_lo_u32_b32 v1, -1, 0
	v_writelane_b32 v22, s33, 13
	s_add_i32 s33, 0, 0x40010
	v_mbcnt_hi_u32_b32 v1, -1, v1
	v_writelane_b32 v22, s33, 14
	s_add_i32 s33, 0, 0x40018
	v_sub_u32_e32 v1, 63, v1
	v_writelane_b32 v22, s33, 15
	s_add_i32 s33, 0, 0x40020
	v_lshrrev_b64 v[3:4], v1, -1
	v_lshrrev_b32_e32 v1, 2, v0
	v_writelane_b32 v22, s33, 16
	s_add_i32 s33, 0, 0x40028
	v_and_b32_e32 v1, 0xf8, v1
	v_writelane_b32 v22, s33, 17
	s_add_i32 s33, 0, 0x40030
	v_add_u32_e32 v13, s0, v1
	s_movk_i32 s0, 0x3ff
	v_writelane_b32 v22, s33, 18
	s_add_i32 s33, 0, 0x40038
	v_cmp_eq_u32_e32 vcc, s0, v0
	s_movk_i32 s0, 0x5f
	s_movk_i32 s2, 0x7f
	;; [unrolled: 1-line block ×16, first 2 shown]
	v_mov_b32_e32 v5, 0
	v_writelane_b32 v22, s33, 19
	s_add_i32 s33, 0, 0x40048
	v_mov_b32_e32 v2, 0
	v_cmp_lt_u32_e64 s[0:1], s0, v0
	v_cmp_lt_u32_e64 s[2:3], s2, v0
	;; [unrolled: 1-line block ×16, first 2 shown]
	v_mov_b32_e32 v6, 0
	s_add_i32 s85, 0, 0x40040
	v_writelane_b32 v22, s33, 20
	s_add_i32 s88, 0, 0x40050
	s_add_i32 s89, 0, 0x40058
	;; [unrolled: 1-line block ×22, first 2 shown]
	v_cmp_lt_u32_e64 s[60:61], 31, v0
	v_cmp_lt_u32_e64 s[62:63], 63, v0
	s_mov_b64 s[72:73], 0
	s_barrier
	s_branch .LBB66_33
.LBB66_32:                              ;   in Loop: Header=BB66_33 Depth=1
	s_or_b64 exec, exec, s[64:65]
	v_mov_b32_e32 v1, s84
	s_waitcnt lgkmcnt(0)
	s_barrier
	ds_read_b64 v[7:8], v1
	v_add_u32_e32 v11, 0x400, v11
	v_add_u32_e32 v12, 0x2000, v12
	s_waitcnt lgkmcnt(0)
	v_add_co_u32_e64 v5, s[64:65], v7, v5
	v_addc_co_u32_e64 v6, s[64:65], v8, v6, s[64:65]
	s_movk_i32 s64, 0x7bff
	v_cmp_lt_u32_e64 s[64:65], s64, v11
	s_or_b64 s[72:73], s[64:65], s[72:73]
	s_andn2_b64 exec, exec, s[72:73]
	s_cbranch_execz .LBB66_99
.LBB66_33:                              ; =>This Inner Loop Header: Depth=1
	ds_read_b64 v[7:8], v12
	s_waitcnt lgkmcnt(0)
	s_barrier
	v_cmp_gt_i64_e64 s[64:65], s[68:69], v[7:8]
	v_and_b32_e32 v10, s64, v3
	s_bcnt1_i32_b64 s74, s[64:65]
	v_and_b32_e32 v9, s65, v4
	v_bcnt_u32_b32 v10, v10, 0
	v_mov_b32_e32 v1, s74
	v_bcnt_u32_b32 v9, v9, v10
	ds_write_b64 v13, v[1:2]
	s_waitcnt lgkmcnt(0)
	s_barrier
	s_and_saveexec_b64 s[74:75], s[60:61]
	s_cbranch_execnz .LBB66_66
; %bb.34:                               ;   in Loop: Header=BB66_33 Depth=1
	s_or_b64 exec, exec, s[74:75]
	s_and_saveexec_b64 s[74:75], s[62:63]
	s_cbranch_execnz .LBB66_67
.LBB66_35:                              ;   in Loop: Header=BB66_33 Depth=1
	s_or_b64 exec, exec, s[74:75]
	s_and_saveexec_b64 s[74:75], s[0:1]
	s_cbranch_execnz .LBB66_68
.LBB66_36:                              ;   in Loop: Header=BB66_33 Depth=1
	s_or_b64 exec, exec, s[74:75]
	s_and_saveexec_b64 s[74:75], s[2:3]
	s_cbranch_execnz .LBB66_69
.LBB66_37:                              ;   in Loop: Header=BB66_33 Depth=1
	s_or_b64 exec, exec, s[74:75]
	s_and_saveexec_b64 s[74:75], s[4:5]
	s_cbranch_execnz .LBB66_70
.LBB66_38:                              ;   in Loop: Header=BB66_33 Depth=1
	s_or_b64 exec, exec, s[74:75]
	s_and_saveexec_b64 s[74:75], s[6:7]
	s_cbranch_execnz .LBB66_71
.LBB66_39:                              ;   in Loop: Header=BB66_33 Depth=1
	s_or_b64 exec, exec, s[74:75]
	s_and_saveexec_b64 s[74:75], s[8:9]
	s_cbranch_execnz .LBB66_72
.LBB66_40:                              ;   in Loop: Header=BB66_33 Depth=1
	s_or_b64 exec, exec, s[74:75]
	s_and_saveexec_b64 s[74:75], s[10:11]
	s_cbranch_execnz .LBB66_73
.LBB66_41:                              ;   in Loop: Header=BB66_33 Depth=1
	s_or_b64 exec, exec, s[74:75]
	s_and_saveexec_b64 s[74:75], s[12:13]
	s_cbranch_execnz .LBB66_74
.LBB66_42:                              ;   in Loop: Header=BB66_33 Depth=1
	s_or_b64 exec, exec, s[74:75]
	s_and_saveexec_b64 s[74:75], s[14:15]
	s_cbranch_execnz .LBB66_75
.LBB66_43:                              ;   in Loop: Header=BB66_33 Depth=1
	s_or_b64 exec, exec, s[74:75]
	s_and_saveexec_b64 s[74:75], s[16:17]
	s_cbranch_execnz .LBB66_76
.LBB66_44:                              ;   in Loop: Header=BB66_33 Depth=1
	s_or_b64 exec, exec, s[74:75]
	s_and_saveexec_b64 s[74:75], s[18:19]
	s_cbranch_execnz .LBB66_77
.LBB66_45:                              ;   in Loop: Header=BB66_33 Depth=1
	s_or_b64 exec, exec, s[74:75]
	s_and_saveexec_b64 s[74:75], s[20:21]
	s_cbranch_execnz .LBB66_78
.LBB66_46:                              ;   in Loop: Header=BB66_33 Depth=1
	s_or_b64 exec, exec, s[74:75]
	s_and_saveexec_b64 s[74:75], s[22:23]
	s_cbranch_execnz .LBB66_79
.LBB66_47:                              ;   in Loop: Header=BB66_33 Depth=1
	s_or_b64 exec, exec, s[74:75]
	s_and_saveexec_b64 s[74:75], s[24:25]
	s_cbranch_execnz .LBB66_80
.LBB66_48:                              ;   in Loop: Header=BB66_33 Depth=1
	s_or_b64 exec, exec, s[74:75]
	s_and_saveexec_b64 s[74:75], s[26:27]
	s_cbranch_execnz .LBB66_81
.LBB66_49:                              ;   in Loop: Header=BB66_33 Depth=1
	s_or_b64 exec, exec, s[74:75]
	s_and_saveexec_b64 s[74:75], s[28:29]
	s_cbranch_execnz .LBB66_82
.LBB66_50:                              ;   in Loop: Header=BB66_33 Depth=1
	s_or_b64 exec, exec, s[74:75]
	s_and_saveexec_b64 s[74:75], s[30:31]
	s_cbranch_execnz .LBB66_83
.LBB66_51:                              ;   in Loop: Header=BB66_33 Depth=1
	s_or_b64 exec, exec, s[74:75]
	s_and_saveexec_b64 s[74:75], s[34:35]
	s_cbranch_execnz .LBB66_84
.LBB66_52:                              ;   in Loop: Header=BB66_33 Depth=1
	s_or_b64 exec, exec, s[74:75]
	s_and_saveexec_b64 s[74:75], s[36:37]
	s_cbranch_execnz .LBB66_85
.LBB66_53:                              ;   in Loop: Header=BB66_33 Depth=1
	s_or_b64 exec, exec, s[74:75]
	s_and_saveexec_b64 s[74:75], s[38:39]
	s_cbranch_execnz .LBB66_86
.LBB66_54:                              ;   in Loop: Header=BB66_33 Depth=1
	s_or_b64 exec, exec, s[74:75]
	s_and_saveexec_b64 s[74:75], s[40:41]
	s_cbranch_execnz .LBB66_87
.LBB66_55:                              ;   in Loop: Header=BB66_33 Depth=1
	s_or_b64 exec, exec, s[74:75]
	s_and_saveexec_b64 s[74:75], s[42:43]
	s_cbranch_execnz .LBB66_88
.LBB66_56:                              ;   in Loop: Header=BB66_33 Depth=1
	s_or_b64 exec, exec, s[74:75]
	s_and_saveexec_b64 s[74:75], s[44:45]
	s_cbranch_execnz .LBB66_89
.LBB66_57:                              ;   in Loop: Header=BB66_33 Depth=1
	s_or_b64 exec, exec, s[74:75]
	s_and_saveexec_b64 s[74:75], s[46:47]
	s_cbranch_execnz .LBB66_90
.LBB66_58:                              ;   in Loop: Header=BB66_33 Depth=1
	s_or_b64 exec, exec, s[74:75]
	s_and_saveexec_b64 s[74:75], s[48:49]
	s_cbranch_execnz .LBB66_91
.LBB66_59:                              ;   in Loop: Header=BB66_33 Depth=1
	s_or_b64 exec, exec, s[74:75]
	s_and_saveexec_b64 s[74:75], s[50:51]
	s_cbranch_execnz .LBB66_92
.LBB66_60:                              ;   in Loop: Header=BB66_33 Depth=1
	s_or_b64 exec, exec, s[74:75]
	s_and_saveexec_b64 s[74:75], s[52:53]
	s_cbranch_execnz .LBB66_93
.LBB66_61:                              ;   in Loop: Header=BB66_33 Depth=1
	s_or_b64 exec, exec, s[74:75]
	s_and_saveexec_b64 s[74:75], s[54:55]
	s_cbranch_execnz .LBB66_94
.LBB66_62:                              ;   in Loop: Header=BB66_33 Depth=1
	s_or_b64 exec, exec, s[74:75]
	s_and_saveexec_b64 s[74:75], s[56:57]
	s_cbranch_execnz .LBB66_95
.LBB66_63:                              ;   in Loop: Header=BB66_33 Depth=1
	s_or_b64 exec, exec, s[74:75]
	s_and_saveexec_b64 s[74:75], s[58:59]
	s_cbranch_execnz .LBB66_96
.LBB66_64:                              ;   in Loop: Header=BB66_33 Depth=1
	s_or_b64 exec, exec, s[74:75]
	v_ashrrev_i32_e32 v10, 31, v9
	s_and_saveexec_b64 s[74:75], s[64:65]
	s_cbranch_execnz .LBB66_97
.LBB66_65:                              ;   in Loop: Header=BB66_33 Depth=1
	s_or_b64 exec, exec, s[74:75]
	s_and_saveexec_b64 s[64:65], vcc
	s_cbranch_execz .LBB66_32
	s_branch .LBB66_98
.LBB66_66:                              ;   in Loop: Header=BB66_33 Depth=1
	v_readlane_b32 s86, v22, 12
	v_mov_b32_e32 v1, s86
	ds_read_b32 v1, v1
	s_waitcnt lgkmcnt(0)
	v_add_u32_e32 v9, v1, v9
	s_or_b64 exec, exec, s[74:75]
	s_and_saveexec_b64 s[74:75], s[62:63]
	s_cbranch_execz .LBB66_35
.LBB66_67:                              ;   in Loop: Header=BB66_33 Depth=1
	v_readlane_b32 s86, v22, 13
	v_mov_b32_e32 v1, s86
	ds_read_b32 v1, v1
	s_waitcnt lgkmcnt(0)
	v_add_u32_e32 v9, v9, v1
	s_or_b64 exec, exec, s[74:75]
	s_and_saveexec_b64 s[74:75], s[0:1]
	s_cbranch_execz .LBB66_36
.LBB66_68:                              ;   in Loop: Header=BB66_33 Depth=1
	v_readlane_b32 s86, v22, 14
	v_mov_b32_e32 v1, s86
	ds_read_b32 v1, v1
	s_waitcnt lgkmcnt(0)
	v_add_u32_e32 v9, v9, v1
	s_or_b64 exec, exec, s[74:75]
	s_and_saveexec_b64 s[74:75], s[2:3]
	s_cbranch_execz .LBB66_37
.LBB66_69:                              ;   in Loop: Header=BB66_33 Depth=1
	v_readlane_b32 s86, v22, 15
	v_mov_b32_e32 v1, s86
	ds_read_b32 v1, v1
	s_waitcnt lgkmcnt(0)
	v_add_u32_e32 v9, v9, v1
	s_or_b64 exec, exec, s[74:75]
	s_and_saveexec_b64 s[74:75], s[4:5]
	s_cbranch_execz .LBB66_38
.LBB66_70:                              ;   in Loop: Header=BB66_33 Depth=1
	v_readlane_b32 s86, v22, 16
	v_mov_b32_e32 v1, s86
	ds_read_b32 v1, v1
	s_waitcnt lgkmcnt(0)
	v_add_u32_e32 v9, v9, v1
	s_or_b64 exec, exec, s[74:75]
	s_and_saveexec_b64 s[74:75], s[6:7]
	s_cbranch_execz .LBB66_39
.LBB66_71:                              ;   in Loop: Header=BB66_33 Depth=1
	v_readlane_b32 s86, v22, 17
	v_mov_b32_e32 v1, s86
	ds_read_b32 v1, v1
	s_waitcnt lgkmcnt(0)
	v_add_u32_e32 v9, v9, v1
	s_or_b64 exec, exec, s[74:75]
	s_and_saveexec_b64 s[74:75], s[8:9]
	s_cbranch_execz .LBB66_40
.LBB66_72:                              ;   in Loop: Header=BB66_33 Depth=1
	v_readlane_b32 s86, v22, 18
	v_mov_b32_e32 v1, s86
	ds_read_b32 v1, v1
	s_waitcnt lgkmcnt(0)
	v_add_u32_e32 v9, v9, v1
	s_or_b64 exec, exec, s[74:75]
	s_and_saveexec_b64 s[74:75], s[10:11]
	s_cbranch_execz .LBB66_41
.LBB66_73:                              ;   in Loop: Header=BB66_33 Depth=1
	v_readlane_b32 s86, v22, 19
	v_mov_b32_e32 v1, s86
	ds_read_b32 v1, v1
	s_waitcnt lgkmcnt(0)
	v_add_u32_e32 v9, v9, v1
	s_or_b64 exec, exec, s[74:75]
	s_and_saveexec_b64 s[74:75], s[12:13]
	s_cbranch_execz .LBB66_42
.LBB66_74:                              ;   in Loop: Header=BB66_33 Depth=1
	v_mov_b32_e32 v1, s85
	ds_read_b32 v1, v1
	s_waitcnt lgkmcnt(0)
	v_add_u32_e32 v9, v9, v1
	s_or_b64 exec, exec, s[74:75]
	s_and_saveexec_b64 s[74:75], s[14:15]
	s_cbranch_execz .LBB66_43
.LBB66_75:                              ;   in Loop: Header=BB66_33 Depth=1
	v_readlane_b32 s86, v22, 20
	v_mov_b32_e32 v1, s86
	ds_read_b32 v1, v1
	s_waitcnt lgkmcnt(0)
	v_add_u32_e32 v9, v9, v1
	s_or_b64 exec, exec, s[74:75]
	s_and_saveexec_b64 s[74:75], s[16:17]
	s_cbranch_execz .LBB66_44
.LBB66_76:                              ;   in Loop: Header=BB66_33 Depth=1
	v_mov_b32_e32 v1, s88
	ds_read_b32 v1, v1
	s_waitcnt lgkmcnt(0)
	v_add_u32_e32 v9, v9, v1
	s_or_b64 exec, exec, s[74:75]
	s_and_saveexec_b64 s[74:75], s[18:19]
	s_cbranch_execz .LBB66_45
.LBB66_77:                              ;   in Loop: Header=BB66_33 Depth=1
	v_mov_b32_e32 v1, s89
	ds_read_b32 v1, v1
	s_waitcnt lgkmcnt(0)
	v_add_u32_e32 v9, v9, v1
	s_or_b64 exec, exec, s[74:75]
	s_and_saveexec_b64 s[74:75], s[20:21]
	s_cbranch_execz .LBB66_46
.LBB66_78:                              ;   in Loop: Header=BB66_33 Depth=1
	v_mov_b32_e32 v1, s90
	ds_read_b32 v1, v1
	s_waitcnt lgkmcnt(0)
	v_add_u32_e32 v9, v9, v1
	s_or_b64 exec, exec, s[74:75]
	s_and_saveexec_b64 s[74:75], s[22:23]
	s_cbranch_execz .LBB66_47
.LBB66_79:                              ;   in Loop: Header=BB66_33 Depth=1
	v_mov_b32_e32 v1, s91
	ds_read_b32 v1, v1
	s_waitcnt lgkmcnt(0)
	v_add_u32_e32 v9, v9, v1
	s_or_b64 exec, exec, s[74:75]
	s_and_saveexec_b64 s[74:75], s[24:25]
	s_cbranch_execz .LBB66_48
.LBB66_80:                              ;   in Loop: Header=BB66_33 Depth=1
	v_mov_b32_e32 v1, s92
	ds_read_b32 v1, v1
	s_waitcnt lgkmcnt(0)
	v_add_u32_e32 v9, v9, v1
	s_or_b64 exec, exec, s[74:75]
	s_and_saveexec_b64 s[74:75], s[26:27]
	s_cbranch_execz .LBB66_49
.LBB66_81:                              ;   in Loop: Header=BB66_33 Depth=1
	v_mov_b32_e32 v1, s93
	ds_read_b32 v1, v1
	s_waitcnt lgkmcnt(0)
	v_add_u32_e32 v9, v9, v1
	s_or_b64 exec, exec, s[74:75]
	s_and_saveexec_b64 s[74:75], s[28:29]
	s_cbranch_execz .LBB66_50
.LBB66_82:                              ;   in Loop: Header=BB66_33 Depth=1
	v_mov_b32_e32 v1, s94
	ds_read_b32 v1, v1
	s_waitcnt lgkmcnt(0)
	v_add_u32_e32 v9, v9, v1
	s_or_b64 exec, exec, s[74:75]
	s_and_saveexec_b64 s[74:75], s[30:31]
	s_cbranch_execz .LBB66_51
.LBB66_83:                              ;   in Loop: Header=BB66_33 Depth=1
	v_mov_b32_e32 v1, s95
	ds_read_b32 v1, v1
	s_waitcnt lgkmcnt(0)
	v_add_u32_e32 v9, v9, v1
	s_or_b64 exec, exec, s[74:75]
	s_and_saveexec_b64 s[74:75], s[34:35]
	s_cbranch_execz .LBB66_52
.LBB66_84:                              ;   in Loop: Header=BB66_33 Depth=1
	v_mov_b32_e32 v1, s70
	ds_read_b32 v1, v1
	s_waitcnt lgkmcnt(0)
	v_add_u32_e32 v9, v9, v1
	s_or_b64 exec, exec, s[74:75]
	s_and_saveexec_b64 s[74:75], s[36:37]
	s_cbranch_execz .LBB66_53
.LBB66_85:                              ;   in Loop: Header=BB66_33 Depth=1
	v_mov_b32_e32 v1, s71
	ds_read_b32 v1, v1
	s_waitcnt lgkmcnt(0)
	v_add_u32_e32 v9, v9, v1
	s_or_b64 exec, exec, s[74:75]
	s_and_saveexec_b64 s[74:75], s[38:39]
	s_cbranch_execz .LBB66_54
.LBB66_86:                              ;   in Loop: Header=BB66_33 Depth=1
	v_mov_b32_e32 v1, s78
	ds_read_b32 v1, v1
	s_waitcnt lgkmcnt(0)
	v_add_u32_e32 v9, v9, v1
	s_or_b64 exec, exec, s[74:75]
	s_and_saveexec_b64 s[74:75], s[40:41]
	s_cbranch_execz .LBB66_55
.LBB66_87:                              ;   in Loop: Header=BB66_33 Depth=1
	v_mov_b32_e32 v1, s79
	ds_read_b32 v1, v1
	s_waitcnt lgkmcnt(0)
	v_add_u32_e32 v9, v9, v1
	s_or_b64 exec, exec, s[74:75]
	s_and_saveexec_b64 s[74:75], s[42:43]
	s_cbranch_execz .LBB66_56
.LBB66_88:                              ;   in Loop: Header=BB66_33 Depth=1
	v_mov_b32_e32 v1, s66
	ds_read_b32 v1, v1
	s_waitcnt lgkmcnt(0)
	v_add_u32_e32 v9, v9, v1
	s_or_b64 exec, exec, s[74:75]
	s_and_saveexec_b64 s[74:75], s[44:45]
	s_cbranch_execz .LBB66_57
.LBB66_89:                              ;   in Loop: Header=BB66_33 Depth=1
	v_mov_b32_e32 v1, s80
	ds_read_b32 v1, v1
	s_waitcnt lgkmcnt(0)
	v_add_u32_e32 v9, v9, v1
	s_or_b64 exec, exec, s[74:75]
	s_and_saveexec_b64 s[74:75], s[46:47]
	s_cbranch_execz .LBB66_58
.LBB66_90:                              ;   in Loop: Header=BB66_33 Depth=1
	v_mov_b32_e32 v1, s81
	ds_read_b32 v1, v1
	s_waitcnt lgkmcnt(0)
	v_add_u32_e32 v9, v9, v1
	s_or_b64 exec, exec, s[74:75]
	s_and_saveexec_b64 s[74:75], s[48:49]
	s_cbranch_execz .LBB66_59
.LBB66_91:                              ;   in Loop: Header=BB66_33 Depth=1
	v_mov_b32_e32 v1, s33
	ds_read_b32 v1, v1
	s_waitcnt lgkmcnt(0)
	v_add_u32_e32 v9, v9, v1
	s_or_b64 exec, exec, s[74:75]
	s_and_saveexec_b64 s[74:75], s[50:51]
	s_cbranch_execz .LBB66_60
.LBB66_92:                              ;   in Loop: Header=BB66_33 Depth=1
	v_mov_b32_e32 v1, s67
	ds_read_b32 v1, v1
	s_waitcnt lgkmcnt(0)
	v_add_u32_e32 v9, v9, v1
	s_or_b64 exec, exec, s[74:75]
	s_and_saveexec_b64 s[74:75], s[52:53]
	s_cbranch_execz .LBB66_61
.LBB66_93:                              ;   in Loop: Header=BB66_33 Depth=1
	v_mov_b32_e32 v1, s76
	ds_read_b32 v1, v1
	s_waitcnt lgkmcnt(0)
	v_add_u32_e32 v9, v9, v1
	s_or_b64 exec, exec, s[74:75]
	s_and_saveexec_b64 s[74:75], s[54:55]
	s_cbranch_execz .LBB66_62
.LBB66_94:                              ;   in Loop: Header=BB66_33 Depth=1
	v_mov_b32_e32 v1, s77
	ds_read_b32 v1, v1
	s_waitcnt lgkmcnt(0)
	v_add_u32_e32 v9, v9, v1
	s_or_b64 exec, exec, s[74:75]
	s_and_saveexec_b64 s[74:75], s[56:57]
	s_cbranch_execz .LBB66_63
.LBB66_95:                              ;   in Loop: Header=BB66_33 Depth=1
	v_mov_b32_e32 v1, s82
	ds_read_b32 v1, v1
	s_waitcnt lgkmcnt(0)
	v_add_u32_e32 v9, v9, v1
	s_or_b64 exec, exec, s[74:75]
	s_and_saveexec_b64 s[74:75], s[58:59]
	s_cbranch_execz .LBB66_64
.LBB66_96:                              ;   in Loop: Header=BB66_33 Depth=1
	v_mov_b32_e32 v1, s83
	ds_read_b32 v1, v1
	s_waitcnt lgkmcnt(0)
	v_add_u32_e32 v9, v9, v1
	s_or_b64 exec, exec, s[74:75]
	v_ashrrev_i32_e32 v10, 31, v9
	s_and_saveexec_b64 s[74:75], s[64:65]
	s_cbranch_execz .LBB66_65
.LBB66_97:                              ;   in Loop: Header=BB66_33 Depth=1
	v_lshlrev_b32_e32 v1, 3, v5
	v_add_u32_e32 v1, 0, v1
	v_lshlrev_b32_e32 v14, 3, v9
	v_add3_u32 v1, v1, v14, -8
	ds_write_b64 v1, v[7:8]
	s_or_b64 exec, exec, s[74:75]
	s_and_saveexec_b64 s[64:65], vcc
	s_cbranch_execz .LBB66_32
.LBB66_98:                              ;   in Loop: Header=BB66_33 Depth=1
	v_mov_b32_e32 v1, s84
	ds_write_b64 v1, v[9:10]
	s_branch .LBB66_32
.LBB66_99:
	s_or_b64 exec, exec, s[72:73]
	v_readlane_b32 s0, v22, 6
	v_readlane_b32 s4, v22, 2
	;; [unrolled: 1-line block ×5, first 2 shown]
	s_lshl_b64 s[0:1], s[0:1], 3
	s_mov_b64 s[2:3], s[6:7]
	v_readlane_b32 s5, v22, 3
	s_add_u32 s4, s2, s0
	s_addc_u32 s5, s3, s1
	s_load_dwordx4 s[0:3], s[4:5], 0x0
	v_mov_b32_e32 v1, 0
	s_waitcnt lgkmcnt(0)
	s_sub_u32 s4, s2, s0
	s_subb_u32 s5, s3, s1
	v_cmp_gt_i64_e32 vcc, s[4:5], v[0:1]
	s_and_saveexec_b64 s[6:7], vcc
	v_readlane_b32 s16, v22, 8
	v_readlane_b32 s18, v22, 10
	;; [unrolled: 1-line block ×4, first 2 shown]
	s_cbranch_execz .LBB66_109
; %bb.100:
	s_sub_u32 s8, s0, s18
	s_subb_u32 s9, s1, 0
	s_and_b32 s6, s4, 7
	s_sub_u32 s0, s0, s2
	s_subb_u32 s1, s1, s3
	v_cmp_lt_u64_e64 s[0:1], s[0:1], -7
	s_mov_b32 s7, 0
	s_and_b32 s10, s4, -8
	s_cmp_lg_u64 s[6:7], 0
	v_cndmask_b32_e64 v2, 0, 1, s[0:1]
	s_mov_b32 s11, s5
	s_mov_b64 s[12:13], 0
	s_cselect_b64 s[14:15], -1, 0
	v_cmp_ne_u32_e64 s[0:1], 1, v2
	s_branch .LBB66_102
.LBB66_101:                             ;   in Loop: Header=BB66_102 Depth=1
	s_waitcnt lgkmcnt(0)
	v_add_co_u32_e32 v2, vcc, s18, v2
	v_addc_co_u32_e32 v3, vcc, 0, v3, vcc
	v_add_co_u32_e32 v0, vcc, 0x400, v0
	v_lshlrev_b64 v[4:5], 3, v[4:5]
	v_readlane_b32 s2, v22, 0
	v_addc_co_u32_e32 v1, vcc, 0, v1, vcc
	v_readlane_b32 s3, v22, 1
	v_cmp_le_i64_e32 vcc, s[4:5], v[0:1]
	v_mov_b32_e32 v6, s3
	v_add_co_u32_e64 v4, s[2:3], s2, v4
	v_addc_co_u32_e64 v5, s[2:3], v6, v5, s[2:3]
	s_or_b64 s[12:13], vcc, s[12:13]
	global_store_dwordx2 v[4:5], v[2:3], off
	s_andn2_b64 exec, exec, s[12:13]
	s_cbranch_execz .LBB66_109
.LBB66_102:                             ; =>This Loop Header: Depth=1
                                        ;     Child Loop BB66_104 Depth 2
                                        ;     Child Loop BB66_108 Depth 2
	v_lshl_add_u32 v2, v0, 3, 0
	ds_read_b64 v[2:3], v2
	v_mov_b32_e32 v4, s8
	s_and_b64 vcc, exec, s[0:1]
	v_mov_b32_e32 v5, s9
	s_mov_b64 s[2:3], 0
	s_cbranch_vccnz .LBB66_106
; %bb.103:                              ;   in Loop: Header=BB66_102 Depth=1
	v_mov_b32_e32 v4, s8
	s_mov_b32 s16, 0
	v_mov_b32_e32 v5, s9
.LBB66_104:                             ;   Parent Loop BB66_102 Depth=1
                                        ; =>  This Inner Loop Header: Depth=2
	v_mov_b32_e32 v18, s16
	ds_read2_b64 v[6:9], v18 offset1:1
	ds_read2_b64 v[10:13], v18 offset0:2 offset1:3
	ds_read2_b64 v[14:17], v18 offset0:4 offset1:5
	;; [unrolled: 1-line block ×3, first 2 shown]
	s_add_u32 s2, s2, 8
	s_waitcnt lgkmcnt(3)
	v_cmp_gt_i64_e32 vcc, v[2:3], v[6:7]
	s_addc_u32 s3, s3, 0
	v_cndmask_b32_e64 v6, 0, 1, vcc
	v_cmp_gt_i64_e32 vcc, v[2:3], v[8:9]
	s_add_i32 s16, s16, 64
	v_cndmask_b32_e64 v7, 0, 1, vcc
	s_waitcnt lgkmcnt(2)
	v_cmp_gt_i64_e32 vcc, v[2:3], v[10:11]
	s_cmp_eq_u64 s[10:11], s[2:3]
	v_cndmask_b32_e64 v8, 0, 1, vcc
	v_cmp_gt_i64_e32 vcc, v[2:3], v[12:13]
	v_cndmask_b32_e64 v9, 0, 1, vcc
	s_waitcnt lgkmcnt(1)
	v_cmp_gt_i64_e32 vcc, v[2:3], v[14:15]
	v_cndmask_b32_e64 v10, 0, 1, vcc
	v_cmp_gt_i64_e32 vcc, v[2:3], v[16:17]
	v_cndmask_b32_e64 v11, 0, 1, vcc
	s_waitcnt lgkmcnt(0)
	v_cmp_gt_i64_e32 vcc, v[2:3], v[18:19]
	v_cndmask_b32_e64 v12, 0, 1, vcc
	v_cmp_gt_i64_e32 vcc, v[2:3], v[20:21]
	v_cndmask_b32_e64 v13, 0, 1, vcc
	v_add_co_u32_e32 v4, vcc, v4, v6
	v_addc_co_u32_e32 v5, vcc, 0, v5, vcc
	v_add_co_u32_e32 v4, vcc, v4, v7
	v_addc_co_u32_e32 v5, vcc, 0, v5, vcc
	;; [unrolled: 2-line block ×8, first 2 shown]
	s_cbranch_scc0 .LBB66_104
; %bb.105:                              ;   in Loop: Header=BB66_102 Depth=1
	s_mov_b64 s[2:3], s[10:11]
.LBB66_106:                             ;   in Loop: Header=BB66_102 Depth=1
	s_andn2_b64 vcc, exec, s[14:15]
	s_cbranch_vccnz .LBB66_101
; %bb.107:                              ;   in Loop: Header=BB66_102 Depth=1
	s_lshl_b32 s2, s2, 3
	s_add_i32 s16, s2, 0
	s_mov_b64 s[2:3], s[6:7]
.LBB66_108:                             ;   Parent Loop BB66_102 Depth=1
                                        ; =>  This Inner Loop Header: Depth=2
	v_mov_b32_e32 v6, s16
	ds_read_b64 v[6:7], v6
	s_add_i32 s16, s16, 8
	s_add_u32 s2, s2, -1
	s_addc_u32 s3, s3, -1
	s_cmp_lg_u64 s[2:3], 0
	s_waitcnt lgkmcnt(0)
	v_cmp_gt_i64_e32 vcc, v[2:3], v[6:7]
	v_cndmask_b32_e64 v6, 0, 1, vcc
	v_add_co_u32_e32 v4, vcc, v4, v6
	v_addc_co_u32_e32 v5, vcc, 0, v5, vcc
	s_cbranch_scc1 .LBB66_108
	s_branch .LBB66_101
.LBB66_109:
	s_endpgm
	.section	.rodata,"a",@progbits
	.p2align	6, 0x0
	.amdhsa_kernel _ZN9rocsparseL35csrgemm_symbolic_fill_block_per_rowILj1024ELj64ELj32768ELj137ELj32EllEEvT5_PKS1_S3_PKT4_S3_S6_S3_S6_S3_S6_PS1_21rocsparse_index_base_S8_S8_S8_bb
		.amdhsa_group_segment_fixed_size 0
		.amdhsa_private_segment_fixed_size 0
		.amdhsa_kernarg_size 108
		.amdhsa_user_sgpr_count 6
		.amdhsa_user_sgpr_private_segment_buffer 1
		.amdhsa_user_sgpr_dispatch_ptr 0
		.amdhsa_user_sgpr_queue_ptr 0
		.amdhsa_user_sgpr_kernarg_segment_ptr 1
		.amdhsa_user_sgpr_dispatch_id 0
		.amdhsa_user_sgpr_flat_scratch_init 0
		.amdhsa_user_sgpr_private_segment_size 0
		.amdhsa_uses_dynamic_stack 0
		.amdhsa_system_sgpr_private_segment_wavefront_offset 0
		.amdhsa_system_sgpr_workgroup_id_x 1
		.amdhsa_system_sgpr_workgroup_id_y 0
		.amdhsa_system_sgpr_workgroup_id_z 0
		.amdhsa_system_sgpr_workgroup_info 0
		.amdhsa_system_vgpr_workitem_id 0
		.amdhsa_next_free_vgpr 23
		.amdhsa_next_free_sgpr 96
		.amdhsa_reserve_vcc 1
		.amdhsa_reserve_flat_scratch 0
		.amdhsa_float_round_mode_32 0
		.amdhsa_float_round_mode_16_64 0
		.amdhsa_float_denorm_mode_32 3
		.amdhsa_float_denorm_mode_16_64 3
		.amdhsa_dx10_clamp 1
		.amdhsa_ieee_mode 1
		.amdhsa_fp16_overflow 0
		.amdhsa_exception_fp_ieee_invalid_op 0
		.amdhsa_exception_fp_denorm_src 0
		.amdhsa_exception_fp_ieee_div_zero 0
		.amdhsa_exception_fp_ieee_overflow 0
		.amdhsa_exception_fp_ieee_underflow 0
		.amdhsa_exception_fp_ieee_inexact 0
		.amdhsa_exception_int_div_zero 0
	.end_amdhsa_kernel
	.section	.text._ZN9rocsparseL35csrgemm_symbolic_fill_block_per_rowILj1024ELj64ELj32768ELj137ELj32EllEEvT5_PKS1_S3_PKT4_S3_S6_S3_S6_S3_S6_PS1_21rocsparse_index_base_S8_S8_S8_bb,"axG",@progbits,_ZN9rocsparseL35csrgemm_symbolic_fill_block_per_rowILj1024ELj64ELj32768ELj137ELj32EllEEvT5_PKS1_S3_PKT4_S3_S6_S3_S6_S3_S6_PS1_21rocsparse_index_base_S8_S8_S8_bb,comdat
.Lfunc_end66:
	.size	_ZN9rocsparseL35csrgemm_symbolic_fill_block_per_rowILj1024ELj64ELj32768ELj137ELj32EllEEvT5_PKS1_S3_PKT4_S3_S6_S3_S6_S3_S6_PS1_21rocsparse_index_base_S8_S8_S8_bb, .Lfunc_end66-_ZN9rocsparseL35csrgemm_symbolic_fill_block_per_rowILj1024ELj64ELj32768ELj137ELj32EllEEvT5_PKS1_S3_PKT4_S3_S6_S3_S6_S3_S6_PS1_21rocsparse_index_base_S8_S8_S8_bb
                                        ; -- End function
	.set _ZN9rocsparseL35csrgemm_symbolic_fill_block_per_rowILj1024ELj64ELj32768ELj137ELj32EllEEvT5_PKS1_S3_PKT4_S3_S6_S3_S6_S3_S6_PS1_21rocsparse_index_base_S8_S8_S8_bb.num_vgpr, 23
	.set _ZN9rocsparseL35csrgemm_symbolic_fill_block_per_rowILj1024ELj64ELj32768ELj137ELj32EllEEvT5_PKS1_S3_PKT4_S3_S6_S3_S6_S3_S6_PS1_21rocsparse_index_base_S8_S8_S8_bb.num_agpr, 0
	.set _ZN9rocsparseL35csrgemm_symbolic_fill_block_per_rowILj1024ELj64ELj32768ELj137ELj32EllEEvT5_PKS1_S3_PKT4_S3_S6_S3_S6_S3_S6_PS1_21rocsparse_index_base_S8_S8_S8_bb.numbered_sgpr, 96
	.set _ZN9rocsparseL35csrgemm_symbolic_fill_block_per_rowILj1024ELj64ELj32768ELj137ELj32EllEEvT5_PKS1_S3_PKT4_S3_S6_S3_S6_S3_S6_PS1_21rocsparse_index_base_S8_S8_S8_bb.num_named_barrier, 0
	.set _ZN9rocsparseL35csrgemm_symbolic_fill_block_per_rowILj1024ELj64ELj32768ELj137ELj32EllEEvT5_PKS1_S3_PKT4_S3_S6_S3_S6_S3_S6_PS1_21rocsparse_index_base_S8_S8_S8_bb.private_seg_size, 0
	.set _ZN9rocsparseL35csrgemm_symbolic_fill_block_per_rowILj1024ELj64ELj32768ELj137ELj32EllEEvT5_PKS1_S3_PKT4_S3_S6_S3_S6_S3_S6_PS1_21rocsparse_index_base_S8_S8_S8_bb.uses_vcc, 1
	.set _ZN9rocsparseL35csrgemm_symbolic_fill_block_per_rowILj1024ELj64ELj32768ELj137ELj32EllEEvT5_PKS1_S3_PKT4_S3_S6_S3_S6_S3_S6_PS1_21rocsparse_index_base_S8_S8_S8_bb.uses_flat_scratch, 0
	.set _ZN9rocsparseL35csrgemm_symbolic_fill_block_per_rowILj1024ELj64ELj32768ELj137ELj32EllEEvT5_PKS1_S3_PKT4_S3_S6_S3_S6_S3_S6_PS1_21rocsparse_index_base_S8_S8_S8_bb.has_dyn_sized_stack, 0
	.set _ZN9rocsparseL35csrgemm_symbolic_fill_block_per_rowILj1024ELj64ELj32768ELj137ELj32EllEEvT5_PKS1_S3_PKT4_S3_S6_S3_S6_S3_S6_PS1_21rocsparse_index_base_S8_S8_S8_bb.has_recursion, 0
	.set _ZN9rocsparseL35csrgemm_symbolic_fill_block_per_rowILj1024ELj64ELj32768ELj137ELj32EllEEvT5_PKS1_S3_PKT4_S3_S6_S3_S6_S3_S6_PS1_21rocsparse_index_base_S8_S8_S8_bb.has_indirect_call, 0
	.section	.AMDGPU.csdata,"",@progbits
; Kernel info:
; codeLenInByte = 4332
; TotalNumSgprs: 100
; NumVgprs: 23
; ScratchSize: 0
; MemoryBound: 0
; FloatMode: 240
; IeeeMode: 1
; LDSByteSize: 0 bytes/workgroup (compile time only)
; SGPRBlocks: 12
; VGPRBlocks: 5
; NumSGPRsForWavesPerEU: 100
; NumVGPRsForWavesPerEU: 23
; Occupancy: 8
; WaveLimiterHint : 1
; COMPUTE_PGM_RSRC2:SCRATCH_EN: 0
; COMPUTE_PGM_RSRC2:USER_SGPR: 6
; COMPUTE_PGM_RSRC2:TRAP_HANDLER: 0
; COMPUTE_PGM_RSRC2:TGID_X_EN: 1
; COMPUTE_PGM_RSRC2:TGID_Y_EN: 0
; COMPUTE_PGM_RSRC2:TGID_Z_EN: 0
; COMPUTE_PGM_RSRC2:TIDIG_COMP_CNT: 0
	.section	.text._ZN9rocsparseL35csrgemm_symbolic_fill_block_per_rowILj1024ELj64ELj32768ELj137ELj64EllEEvT5_PKS1_S3_PKT4_S3_S6_S3_S6_S3_S6_PS1_21rocsparse_index_base_S8_S8_S8_bb,"axG",@progbits,_ZN9rocsparseL35csrgemm_symbolic_fill_block_per_rowILj1024ELj64ELj32768ELj137ELj64EllEEvT5_PKS1_S3_PKT4_S3_S6_S3_S6_S3_S6_PS1_21rocsparse_index_base_S8_S8_S8_bb,comdat
	.globl	_ZN9rocsparseL35csrgemm_symbolic_fill_block_per_rowILj1024ELj64ELj32768ELj137ELj64EllEEvT5_PKS1_S3_PKT4_S3_S6_S3_S6_S3_S6_PS1_21rocsparse_index_base_S8_S8_S8_bb ; -- Begin function _ZN9rocsparseL35csrgemm_symbolic_fill_block_per_rowILj1024ELj64ELj32768ELj137ELj64EllEEvT5_PKS1_S3_PKT4_S3_S6_S3_S6_S3_S6_PS1_21rocsparse_index_base_S8_S8_S8_bb
	.p2align	8
	.type	_ZN9rocsparseL35csrgemm_symbolic_fill_block_per_rowILj1024ELj64ELj32768ELj137ELj64EllEEvT5_PKS1_S3_PKT4_S3_S6_S3_S6_S3_S6_PS1_21rocsparse_index_base_S8_S8_S8_bb,@function
_ZN9rocsparseL35csrgemm_symbolic_fill_block_per_rowILj1024ELj64ELj32768ELj137ELj64EllEEvT5_PKS1_S3_PKT4_S3_S6_S3_S6_S3_S6_PS1_21rocsparse_index_base_S8_S8_S8_bb: ; @_ZN9rocsparseL35csrgemm_symbolic_fill_block_per_rowILj1024ELj64ELj32768ELj137ELj64EllEEvT5_PKS1_S3_PKT4_S3_S6_S3_S6_S3_S6_PS1_21rocsparse_index_base_S8_S8_S8_bb
; %bb.0:
	s_load_dwordx2 s[34:35], s[4:5], 0x50
	s_load_dwordx4 s[48:51], s[4:5], 0x40
	s_load_dwordx8 s[36:43], s[4:5], 0x0
	s_load_dwordx8 s[8:15], s[4:5], 0x20
	v_or_b32_e32 v11, 0xfffffc00, v0
	v_lshl_add_u32 v12, v0, 3, 0
	s_mov_b64 s[0:1], 0
	s_waitcnt lgkmcnt(0)
	v_mov_b32_e32 v1, s36
	v_mov_b32_e32 v2, s37
	s_movk_i32 s2, 0x7bff
	v_mov_b32_e32 v3, v12
	v_mov_b32_e32 v4, v11
.LBB67_1:                               ; =>This Inner Loop Header: Depth=1
	v_add_u32_e32 v4, 0x400, v4
	v_cmp_lt_u32_e32 vcc, s2, v4
	ds_write_b64 v3, v[1:2]
	s_or_b64 s[0:1], vcc, s[0:1]
	v_add_u32_e32 v3, 0x2000, v3
	s_andn2_b64 exec, exec, s[0:1]
	s_cbranch_execnz .LBB67_1
; %bb.2:
	s_or_b64 exec, exec, s[0:1]
	s_load_dword s28, s[4:5], 0x68
	s_waitcnt lgkmcnt(0)
	s_barrier
	s_load_dwordx2 s[0:1], s[38:39], 0x0
	s_load_dwordx4 s[44:47], s[4:5], 0x58
	s_bitcmp1_b32 s28, 0
	s_cselect_b64 s[2:3], -1, 0
	s_mov_b32 s7, 0
	s_waitcnt lgkmcnt(0)
	s_lshl_b64 s[0:1], s[0:1], 3
	s_add_u32 s4, s40, s0
	s_addc_u32 s5, s41, s1
	s_lshl_b64 s[0:1], s[6:7], 3
	s_add_u32 s0, s4, s0
	s_addc_u32 s1, s5, s1
	s_load_dwordx2 s[38:39], s[0:1], 0x0
	v_lshrrev_b32_e32 v13, 6, v0
	s_and_b64 vcc, exec, s[2:3]
	s_cbranch_vccz .LBB67_18
; %bb.3:
	s_waitcnt lgkmcnt(0)
	s_lshl_b64 s[0:1], s[38:39], 3
	s_add_u32 s0, s42, s0
	s_addc_u32 s1, s43, s1
	s_load_dwordx4 s[4:7], s[0:1], 0x0
	v_subrev_co_u32_e32 v1, vcc, s44, v13
	v_subb_co_u32_e64 v2, s[0:1], 0, 0, vcc
	s_waitcnt lgkmcnt(0)
	s_sub_u32 s0, s6, s44
	v_mov_b32_e32 v3, s5
	v_add_co_u32_e32 v1, vcc, s4, v1
	s_subb_u32 s1, s7, 0
	v_addc_co_u32_e32 v2, vcc, v3, v2, vcc
	v_cmp_gt_i64_e32 vcc, s[0:1], v[1:2]
	s_and_saveexec_b64 s[2:3], vcc
	s_cbranch_execz .LBB67_17
; %bb.4:
	v_and_b32_e32 v3, 63, v0
	v_subrev_co_u32_e32 v14, vcc, s45, v3
	v_subb_co_u32_e64 v15, s[4:5], 0, 0, vcc
	s_mov_b32 s29, s45
	s_mov_b64 s[4:5], 0
	v_mov_b32_e32 v16, s9
	v_mov_b32_e32 v17, s11
	s_movk_i32 s9, 0x89
	s_branch .LBB67_6
.LBB67_5:                               ;   in Loop: Header=BB67_6 Depth=1
	s_or_b64 exec, exec, s[6:7]
	v_add_co_u32_e32 v1, vcc, 16, v1
	v_addc_co_u32_e32 v2, vcc, 0, v2, vcc
	v_cmp_le_i64_e32 vcc, s[0:1], v[1:2]
	s_or_b64 s[4:5], vcc, s[4:5]
	s_andn2_b64 exec, exec, s[4:5]
	s_cbranch_execz .LBB67_17
.LBB67_6:                               ; =>This Loop Header: Depth=1
                                        ;     Child Loop BB67_9 Depth 2
                                        ;       Child Loop BB67_12 Depth 3
	v_lshlrev_b64 v[3:4], 3, v[1:2]
	v_add_co_u32_e32 v3, vcc, s8, v3
	v_addc_co_u32_e32 v4, vcc, v16, v4, vcc
	global_load_dwordx2 v[3:4], v[3:4], off
	s_waitcnt vmcnt(0)
	v_subrev_co_u32_e32 v3, vcc, s44, v3
	v_subbrev_co_u32_e32 v4, vcc, 0, v4, vcc
	v_lshlrev_b64 v[3:4], 3, v[3:4]
	v_add_co_u32_e32 v3, vcc, s10, v3
	v_addc_co_u32_e32 v4, vcc, v17, v4, vcc
	global_load_dwordx4 v[5:8], v[3:4], off
	s_waitcnt vmcnt(0)
	v_subrev_co_u32_e32 v3, vcc, s29, v7
	v_subbrev_co_u32_e32 v4, vcc, 0, v8, vcc
	v_add_co_u32_e32 v5, vcc, v5, v14
	v_addc_co_u32_e32 v6, vcc, v6, v15, vcc
	v_cmp_lt_i64_e32 vcc, v[5:6], v[3:4]
	s_and_saveexec_b64 s[6:7], vcc
	s_cbranch_execz .LBB67_5
; %bb.7:                                ;   in Loop: Header=BB67_6 Depth=1
	s_mov_b64 s[16:17], 0
	s_branch .LBB67_9
.LBB67_8:                               ;   in Loop: Header=BB67_9 Depth=2
	s_or_b64 exec, exec, s[18:19]
	v_add_co_u32_e32 v5, vcc, 64, v5
	v_addc_co_u32_e32 v6, vcc, 0, v6, vcc
	v_cmp_ge_i64_e32 vcc, v[5:6], v[3:4]
	s_or_b64 s[16:17], vcc, s[16:17]
	s_andn2_b64 exec, exec, s[16:17]
	s_cbranch_execz .LBB67_5
.LBB67_9:                               ;   Parent Loop BB67_6 Depth=1
                                        ; =>  This Loop Header: Depth=2
                                        ;       Child Loop BB67_12 Depth 3
	v_lshlrev_b64 v[7:8], 3, v[5:6]
	v_mov_b32_e32 v9, s13
	v_add_co_u32_e32 v7, vcc, s12, v7
	v_addc_co_u32_e32 v8, vcc, v9, v8, vcc
	global_load_dwordx2 v[7:8], v[7:8], off
	s_mov_b64 s[18:19], 0
                                        ; implicit-def: $sgpr20_sgpr21
	s_waitcnt vmcnt(0)
	v_subrev_co_u32_e32 v7, vcc, s29, v7
	v_mul_lo_u32 v9, v7, s9
	v_subbrev_co_u32_e32 v8, vcc, 0, v8, vcc
	v_and_b32_e32 v18, 0x7fff, v9
	s_branch .LBB67_12
.LBB67_10:                              ;   in Loop: Header=BB67_12 Depth=3
	s_or_b64 exec, exec, s[24:25]
	s_andn2_b64 s[20:21], s[20:21], exec
	s_and_b64 s[24:25], s[26:27], exec
	s_or_b64 s[20:21], s[20:21], s[24:25]
.LBB67_11:                              ;   in Loop: Header=BB67_12 Depth=3
	s_or_b64 exec, exec, s[22:23]
	s_xor_b64 s[22:23], s[20:21], -1
	s_and_b64 s[22:23], exec, s[22:23]
	s_or_b64 s[18:19], s[22:23], s[18:19]
	s_andn2_b64 exec, exec, s[18:19]
	s_cbranch_execz .LBB67_8
.LBB67_12:                              ;   Parent Loop BB67_6 Depth=1
                                        ;     Parent Loop BB67_9 Depth=2
                                        ; =>    This Inner Loop Header: Depth=3
	v_lshl_add_u32 v19, v18, 3, 0
	ds_read_b64 v[9:10], v19
	s_andn2_b64 s[20:21], s[20:21], exec
	s_waitcnt lgkmcnt(0)
	v_cmp_ne_u64_e32 vcc, v[9:10], v[7:8]
	s_and_saveexec_b64 s[22:23], vcc
	s_cbranch_execz .LBB67_11
; %bb.13:                               ;   in Loop: Header=BB67_12 Depth=3
	v_cmp_ne_u64_e32 vcc, s[36:37], v[9:10]
	s_and_saveexec_b64 s[24:25], vcc
	s_xor_b64 s[24:25], exec, s[24:25]
; %bb.14:                               ;   in Loop: Header=BB67_12 Depth=3
	v_add_u32_e32 v9, 1, v18
	v_and_b32_e32 v18, 0x7fff, v9
                                        ; implicit-def: $vgpr19
; %bb.15:                               ;   in Loop: Header=BB67_12 Depth=3
	s_or_saveexec_b64 s[24:25], s[24:25]
	s_mov_b64 s[26:27], -1
	s_xor_b64 exec, exec, s[24:25]
	s_cbranch_execz .LBB67_10
; %bb.16:                               ;   in Loop: Header=BB67_12 Depth=3
	v_mov_b32_e32 v9, s36
	v_mov_b32_e32 v10, s37
	ds_cmpst_rtn_b64 v[9:10], v19, v[9:10], v[7:8]
	s_waitcnt lgkmcnt(0)
	v_cmp_ne_u64_e32 vcc, s[36:37], v[9:10]
	s_orn2_b64 s[26:27], vcc, exec
	s_branch .LBB67_10
.LBB67_17:
	s_or_b64 exec, exec, s[2:3]
.LBB67_18:
	s_bfe_u32 s0, s28, 0x10008
	s_cmp_eq_u32 s0, 0
	s_cbranch_scc1 .LBB67_31
; %bb.19:
	s_waitcnt lgkmcnt(0)
	s_lshl_b64 s[0:1], s[38:39], 3
	s_add_u32 s0, s14, s0
	s_addc_u32 s1, s15, s1
	s_load_dwordx4 s[4:7], s[0:1], 0x0
	v_subrev_co_u32_e32 v1, vcc, s47, v0
	v_subb_co_u32_e64 v2, s[0:1], 0, 0, vcc
	s_waitcnt lgkmcnt(0)
	s_sub_u32 s0, s6, s47
	v_mov_b32_e32 v3, s5
	v_add_co_u32_e32 v1, vcc, s4, v1
	s_subb_u32 s1, s7, 0
	v_addc_co_u32_e32 v2, vcc, v3, v2, vcc
	v_cmp_gt_i64_e32 vcc, s[0:1], v[1:2]
	s_and_saveexec_b64 s[2:3], vcc
	s_cbranch_execz .LBB67_30
; %bb.20:
	s_mov_b32 s16, s47
	s_mov_b64 s[4:5], 0
	v_mov_b32_e32 v7, s49
	s_movk_i32 s17, 0x89
	s_branch .LBB67_22
.LBB67_21:                              ;   in Loop: Header=BB67_22 Depth=1
	s_or_b64 exec, exec, s[6:7]
	v_add_co_u32_e32 v1, vcc, 0x400, v1
	v_addc_co_u32_e32 v2, vcc, 0, v2, vcc
	v_cmp_le_i64_e32 vcc, s[0:1], v[1:2]
	s_or_b64 s[4:5], vcc, s[4:5]
	s_andn2_b64 exec, exec, s[4:5]
	s_cbranch_execz .LBB67_30
.LBB67_22:                              ; =>This Loop Header: Depth=1
                                        ;     Child Loop BB67_25 Depth 2
	v_lshlrev_b64 v[3:4], 3, v[1:2]
	s_mov_b64 s[6:7], 0
	v_add_co_u32_e32 v3, vcc, s48, v3
	v_addc_co_u32_e32 v4, vcc, v7, v4, vcc
	global_load_dwordx2 v[3:4], v[3:4], off
                                        ; implicit-def: $sgpr8_sgpr9
	s_waitcnt vmcnt(0)
	v_subrev_co_u32_e32 v3, vcc, s16, v3
	v_mul_lo_u32 v5, v3, s17
	v_subbrev_co_u32_e32 v4, vcc, 0, v4, vcc
	v_and_b32_e32 v8, 0x7fff, v5
	s_branch .LBB67_25
.LBB67_23:                              ;   in Loop: Header=BB67_25 Depth=2
	s_or_b64 exec, exec, s[12:13]
	s_andn2_b64 s[8:9], s[8:9], exec
	s_and_b64 s[12:13], s[14:15], exec
	s_or_b64 s[8:9], s[8:9], s[12:13]
.LBB67_24:                              ;   in Loop: Header=BB67_25 Depth=2
	s_or_b64 exec, exec, s[10:11]
	s_xor_b64 s[10:11], s[8:9], -1
	s_and_b64 s[10:11], exec, s[10:11]
	s_or_b64 s[6:7], s[10:11], s[6:7]
	s_andn2_b64 exec, exec, s[6:7]
	s_cbranch_execz .LBB67_21
.LBB67_25:                              ;   Parent Loop BB67_22 Depth=1
                                        ; =>  This Inner Loop Header: Depth=2
	v_lshl_add_u32 v9, v8, 3, 0
	ds_read_b64 v[5:6], v9
	s_andn2_b64 s[8:9], s[8:9], exec
	s_waitcnt lgkmcnt(0)
	v_cmp_ne_u64_e32 vcc, v[5:6], v[3:4]
	s_and_saveexec_b64 s[10:11], vcc
	s_cbranch_execz .LBB67_24
; %bb.26:                               ;   in Loop: Header=BB67_25 Depth=2
	v_cmp_ne_u64_e32 vcc, s[36:37], v[5:6]
	s_and_saveexec_b64 s[12:13], vcc
	s_xor_b64 s[12:13], exec, s[12:13]
; %bb.27:                               ;   in Loop: Header=BB67_25 Depth=2
	v_add_u32_e32 v5, 1, v8
	v_and_b32_e32 v8, 0x7fff, v5
                                        ; implicit-def: $vgpr9
; %bb.28:                               ;   in Loop: Header=BB67_25 Depth=2
	s_or_saveexec_b64 s[12:13], s[12:13]
	s_mov_b64 s[14:15], -1
	s_xor_b64 exec, exec, s[12:13]
	s_cbranch_execz .LBB67_23
; %bb.29:                               ;   in Loop: Header=BB67_25 Depth=2
	v_mov_b32_e32 v5, s36
	v_mov_b32_e32 v6, s37
	ds_cmpst_rtn_b64 v[5:6], v9, v[5:6], v[3:4]
	s_waitcnt lgkmcnt(0)
	v_cmp_ne_u64_e32 vcc, s[36:37], v[5:6]
	s_orn2_b64 s[14:15], vcc, exec
	s_branch .LBB67_23
.LBB67_30:
	s_or_b64 exec, exec, s[2:3]
.LBB67_31:
	v_mbcnt_lo_u32_b32 v1, -1, 0
	v_mbcnt_hi_u32_b32 v1, -1, v1
	v_sub_u32_e32 v1, 63, v1
	v_lshrrev_b64 v[3:4], v1, -1
	s_add_i32 s33, 0, 0x40000
	s_movk_i32 s0, 0x3ff
	s_movk_i32 s2, 0x7f
	;; [unrolled: 1-line block ×15, first 2 shown]
	v_mov_b32_e32 v5, 0
	v_mov_b32_e32 v2, 0
	v_lshl_add_u32 v13, v13, 3, s33
	v_cmp_eq_u32_e32 vcc, s0, v0
	v_cmp_lt_u32_e64 s[0:1], 63, v0
	v_cmp_lt_u32_e64 s[2:3], s2, v0
	;; [unrolled: 1-line block ×15, first 2 shown]
	s_mov_b64 s[40:41], 0
	v_mov_b32_e32 v6, 0
	s_add_i32 s44, 0, 0x40008
	s_add_i32 s45, 0, 0x40010
	;; [unrolled: 1-line block ×15, first 2 shown]
	s_movk_i32 s62, 0x7bff
	s_waitcnt lgkmcnt(0)
	s_barrier
	s_branch .LBB67_33
.LBB67_32:                              ;   in Loop: Header=BB67_33 Depth=1
	s_or_b64 exec, exec, s[30:31]
	v_mov_b32_e32 v1, s61
	s_waitcnt lgkmcnt(0)
	s_barrier
	ds_read_b64 v[7:8], v1
	v_add_u32_e32 v11, 0x400, v11
	v_add_u32_e32 v12, 0x2000, v12
	s_waitcnt lgkmcnt(0)
	v_add_co_u32_e64 v5, s[30:31], v7, v5
	v_addc_co_u32_e64 v6, s[30:31], v8, v6, s[30:31]
	v_cmp_lt_u32_e64 s[30:31], s62, v11
	s_or_b64 s[40:41], s[30:31], s[40:41]
	s_andn2_b64 exec, exec, s[40:41]
	s_cbranch_execz .LBB67_67
.LBB67_33:                              ; =>This Inner Loop Header: Depth=1
	ds_read_b64 v[7:8], v12
	s_waitcnt lgkmcnt(0)
	s_barrier
	v_cmp_gt_i64_e64 s[30:31], s[36:37], v[7:8]
	v_and_b32_e32 v10, s30, v3
	s_bcnt1_i32_b64 s42, s[30:31]
	v_and_b32_e32 v9, s31, v4
	v_bcnt_u32_b32 v10, v10, 0
	v_mov_b32_e32 v1, s42
	v_bcnt_u32_b32 v9, v9, v10
	ds_write_b64 v13, v[1:2]
	s_waitcnt lgkmcnt(0)
	s_barrier
	s_and_saveexec_b64 s[42:43], s[0:1]
	s_cbranch_execnz .LBB67_50
; %bb.34:                               ;   in Loop: Header=BB67_33 Depth=1
	s_or_b64 exec, exec, s[42:43]
	s_and_saveexec_b64 s[42:43], s[2:3]
	s_cbranch_execnz .LBB67_51
.LBB67_35:                              ;   in Loop: Header=BB67_33 Depth=1
	s_or_b64 exec, exec, s[42:43]
	s_and_saveexec_b64 s[42:43], s[4:5]
	s_cbranch_execnz .LBB67_52
.LBB67_36:                              ;   in Loop: Header=BB67_33 Depth=1
	s_or_b64 exec, exec, s[42:43]
	s_and_saveexec_b64 s[42:43], s[6:7]
	s_cbranch_execnz .LBB67_53
.LBB67_37:                              ;   in Loop: Header=BB67_33 Depth=1
	s_or_b64 exec, exec, s[42:43]
	s_and_saveexec_b64 s[42:43], s[8:9]
	s_cbranch_execnz .LBB67_54
.LBB67_38:                              ;   in Loop: Header=BB67_33 Depth=1
	s_or_b64 exec, exec, s[42:43]
	s_and_saveexec_b64 s[42:43], s[10:11]
	s_cbranch_execnz .LBB67_55
.LBB67_39:                              ;   in Loop: Header=BB67_33 Depth=1
	s_or_b64 exec, exec, s[42:43]
	s_and_saveexec_b64 s[42:43], s[12:13]
	s_cbranch_execnz .LBB67_56
.LBB67_40:                              ;   in Loop: Header=BB67_33 Depth=1
	s_or_b64 exec, exec, s[42:43]
	s_and_saveexec_b64 s[42:43], s[14:15]
	s_cbranch_execnz .LBB67_57
.LBB67_41:                              ;   in Loop: Header=BB67_33 Depth=1
	s_or_b64 exec, exec, s[42:43]
	s_and_saveexec_b64 s[42:43], s[16:17]
	s_cbranch_execnz .LBB67_58
.LBB67_42:                              ;   in Loop: Header=BB67_33 Depth=1
	s_or_b64 exec, exec, s[42:43]
	s_and_saveexec_b64 s[42:43], s[18:19]
	s_cbranch_execnz .LBB67_59
.LBB67_43:                              ;   in Loop: Header=BB67_33 Depth=1
	s_or_b64 exec, exec, s[42:43]
	s_and_saveexec_b64 s[42:43], s[20:21]
	s_cbranch_execnz .LBB67_60
.LBB67_44:                              ;   in Loop: Header=BB67_33 Depth=1
	s_or_b64 exec, exec, s[42:43]
	s_and_saveexec_b64 s[42:43], s[22:23]
	s_cbranch_execnz .LBB67_61
.LBB67_45:                              ;   in Loop: Header=BB67_33 Depth=1
	s_or_b64 exec, exec, s[42:43]
	s_and_saveexec_b64 s[42:43], s[24:25]
	s_cbranch_execnz .LBB67_62
.LBB67_46:                              ;   in Loop: Header=BB67_33 Depth=1
	s_or_b64 exec, exec, s[42:43]
	s_and_saveexec_b64 s[42:43], s[26:27]
	s_cbranch_execnz .LBB67_63
.LBB67_47:                              ;   in Loop: Header=BB67_33 Depth=1
	s_or_b64 exec, exec, s[42:43]
	s_and_saveexec_b64 s[42:43], s[28:29]
	s_cbranch_execnz .LBB67_64
.LBB67_48:                              ;   in Loop: Header=BB67_33 Depth=1
	s_or_b64 exec, exec, s[42:43]
	v_ashrrev_i32_e32 v10, 31, v9
	s_and_saveexec_b64 s[42:43], s[30:31]
	s_cbranch_execnz .LBB67_65
.LBB67_49:                              ;   in Loop: Header=BB67_33 Depth=1
	s_or_b64 exec, exec, s[42:43]
	s_and_saveexec_b64 s[30:31], vcc
	s_cbranch_execz .LBB67_32
	s_branch .LBB67_66
.LBB67_50:                              ;   in Loop: Header=BB67_33 Depth=1
	v_mov_b32_e32 v1, s33
	ds_read_b32 v1, v1
	s_waitcnt lgkmcnt(0)
	v_add_u32_e32 v9, v1, v9
	s_or_b64 exec, exec, s[42:43]
	s_and_saveexec_b64 s[42:43], s[2:3]
	s_cbranch_execz .LBB67_35
.LBB67_51:                              ;   in Loop: Header=BB67_33 Depth=1
	v_mov_b32_e32 v1, s44
	ds_read_b32 v1, v1
	s_waitcnt lgkmcnt(0)
	v_add_u32_e32 v9, v9, v1
	s_or_b64 exec, exec, s[42:43]
	s_and_saveexec_b64 s[42:43], s[4:5]
	s_cbranch_execz .LBB67_36
.LBB67_52:                              ;   in Loop: Header=BB67_33 Depth=1
	v_mov_b32_e32 v1, s45
	ds_read_b32 v1, v1
	s_waitcnt lgkmcnt(0)
	v_add_u32_e32 v9, v9, v1
	s_or_b64 exec, exec, s[42:43]
	s_and_saveexec_b64 s[42:43], s[6:7]
	s_cbranch_execz .LBB67_37
.LBB67_53:                              ;   in Loop: Header=BB67_33 Depth=1
	v_mov_b32_e32 v1, s47
	ds_read_b32 v1, v1
	s_waitcnt lgkmcnt(0)
	v_add_u32_e32 v9, v9, v1
	s_or_b64 exec, exec, s[42:43]
	s_and_saveexec_b64 s[42:43], s[8:9]
	s_cbranch_execz .LBB67_38
.LBB67_54:                              ;   in Loop: Header=BB67_33 Depth=1
	v_mov_b32_e32 v1, s48
	ds_read_b32 v1, v1
	s_waitcnt lgkmcnt(0)
	v_add_u32_e32 v9, v9, v1
	s_or_b64 exec, exec, s[42:43]
	s_and_saveexec_b64 s[42:43], s[10:11]
	s_cbranch_execz .LBB67_39
.LBB67_55:                              ;   in Loop: Header=BB67_33 Depth=1
	v_mov_b32_e32 v1, s49
	ds_read_b32 v1, v1
	s_waitcnt lgkmcnt(0)
	v_add_u32_e32 v9, v9, v1
	s_or_b64 exec, exec, s[42:43]
	s_and_saveexec_b64 s[42:43], s[12:13]
	s_cbranch_execz .LBB67_40
.LBB67_56:                              ;   in Loop: Header=BB67_33 Depth=1
	v_mov_b32_e32 v1, s52
	ds_read_b32 v1, v1
	s_waitcnt lgkmcnt(0)
	v_add_u32_e32 v9, v9, v1
	s_or_b64 exec, exec, s[42:43]
	s_and_saveexec_b64 s[42:43], s[14:15]
	s_cbranch_execz .LBB67_41
.LBB67_57:                              ;   in Loop: Header=BB67_33 Depth=1
	v_mov_b32_e32 v1, s53
	ds_read_b32 v1, v1
	s_waitcnt lgkmcnt(0)
	v_add_u32_e32 v9, v9, v1
	s_or_b64 exec, exec, s[42:43]
	s_and_saveexec_b64 s[42:43], s[16:17]
	s_cbranch_execz .LBB67_42
.LBB67_58:                              ;   in Loop: Header=BB67_33 Depth=1
	v_mov_b32_e32 v1, s54
	ds_read_b32 v1, v1
	s_waitcnt lgkmcnt(0)
	v_add_u32_e32 v9, v9, v1
	s_or_b64 exec, exec, s[42:43]
	s_and_saveexec_b64 s[42:43], s[18:19]
	s_cbranch_execz .LBB67_43
.LBB67_59:                              ;   in Loop: Header=BB67_33 Depth=1
	v_mov_b32_e32 v1, s55
	ds_read_b32 v1, v1
	s_waitcnt lgkmcnt(0)
	v_add_u32_e32 v9, v9, v1
	s_or_b64 exec, exec, s[42:43]
	s_and_saveexec_b64 s[42:43], s[20:21]
	s_cbranch_execz .LBB67_44
.LBB67_60:                              ;   in Loop: Header=BB67_33 Depth=1
	v_mov_b32_e32 v1, s56
	ds_read_b32 v1, v1
	s_waitcnt lgkmcnt(0)
	v_add_u32_e32 v9, v9, v1
	s_or_b64 exec, exec, s[42:43]
	s_and_saveexec_b64 s[42:43], s[22:23]
	s_cbranch_execz .LBB67_45
.LBB67_61:                              ;   in Loop: Header=BB67_33 Depth=1
	v_mov_b32_e32 v1, s57
	ds_read_b32 v1, v1
	s_waitcnt lgkmcnt(0)
	v_add_u32_e32 v9, v9, v1
	s_or_b64 exec, exec, s[42:43]
	s_and_saveexec_b64 s[42:43], s[24:25]
	s_cbranch_execz .LBB67_46
.LBB67_62:                              ;   in Loop: Header=BB67_33 Depth=1
	v_mov_b32_e32 v1, s58
	ds_read_b32 v1, v1
	s_waitcnt lgkmcnt(0)
	v_add_u32_e32 v9, v9, v1
	s_or_b64 exec, exec, s[42:43]
	s_and_saveexec_b64 s[42:43], s[26:27]
	s_cbranch_execz .LBB67_47
.LBB67_63:                              ;   in Loop: Header=BB67_33 Depth=1
	v_mov_b32_e32 v1, s59
	ds_read_b32 v1, v1
	s_waitcnt lgkmcnt(0)
	v_add_u32_e32 v9, v9, v1
	s_or_b64 exec, exec, s[42:43]
	s_and_saveexec_b64 s[42:43], s[28:29]
	s_cbranch_execz .LBB67_48
.LBB67_64:                              ;   in Loop: Header=BB67_33 Depth=1
	v_mov_b32_e32 v1, s60
	ds_read_b32 v1, v1
	s_waitcnt lgkmcnt(0)
	v_add_u32_e32 v9, v9, v1
	s_or_b64 exec, exec, s[42:43]
	v_ashrrev_i32_e32 v10, 31, v9
	s_and_saveexec_b64 s[42:43], s[30:31]
	s_cbranch_execz .LBB67_49
.LBB67_65:                              ;   in Loop: Header=BB67_33 Depth=1
	v_lshlrev_b32_e32 v1, 3, v5
	v_add_u32_e32 v1, 0, v1
	v_lshlrev_b32_e32 v14, 3, v9
	v_add3_u32 v1, v1, v14, -8
	ds_write_b64 v1, v[7:8]
	s_or_b64 exec, exec, s[42:43]
	s_and_saveexec_b64 s[30:31], vcc
	s_cbranch_execz .LBB67_32
.LBB67_66:                              ;   in Loop: Header=BB67_33 Depth=1
	v_mov_b32_e32 v1, s61
	ds_write_b64 v1, v[9:10]
	s_branch .LBB67_32
.LBB67_67:
	s_or_b64 exec, exec, s[40:41]
	s_lshl_b64 s[0:1], s[38:39], 3
	s_add_u32 s4, s50, s0
	s_addc_u32 s5, s51, s1
	s_load_dwordx4 s[0:3], s[4:5], 0x0
	v_mov_b32_e32 v1, 0
	s_waitcnt lgkmcnt(0)
	s_sub_u32 s4, s2, s0
	s_subb_u32 s5, s3, s1
	v_cmp_gt_i64_e32 vcc, s[4:5], v[0:1]
	s_and_saveexec_b64 s[6:7], vcc
	s_cbranch_execz .LBB67_77
; %bb.68:
	s_sub_u32 s8, s0, s46
	s_subb_u32 s9, s1, 0
	s_and_b32 s6, s4, 7
	s_sub_u32 s0, s0, s2
	s_subb_u32 s1, s1, s3
	v_cmp_lt_u64_e64 s[0:1], s[0:1], -7
	s_mov_b32 s7, 0
	s_and_b32 s10, s4, -8
	s_cmp_lg_u64 s[6:7], 0
	v_cndmask_b32_e64 v2, 0, 1, s[0:1]
	s_mov_b32 s11, s5
	s_mov_b64 s[12:13], 0
	s_cselect_b64 s[14:15], -1, 0
	v_cmp_ne_u32_e64 s[0:1], 1, v2
	s_branch .LBB67_70
.LBB67_69:                              ;   in Loop: Header=BB67_70 Depth=1
	s_waitcnt lgkmcnt(0)
	v_add_co_u32_e32 v2, vcc, s46, v2
	v_addc_co_u32_e32 v3, vcc, 0, v3, vcc
	v_add_co_u32_e32 v0, vcc, 0x400, v0
	v_lshlrev_b64 v[4:5], 3, v[4:5]
	v_addc_co_u32_e32 v1, vcc, 0, v1, vcc
	v_cmp_le_i64_e32 vcc, s[4:5], v[0:1]
	v_mov_b32_e32 v6, s35
	v_add_co_u32_e64 v4, s[2:3], s34, v4
	v_addc_co_u32_e64 v5, s[2:3], v6, v5, s[2:3]
	s_or_b64 s[12:13], vcc, s[12:13]
	global_store_dwordx2 v[4:5], v[2:3], off
	s_andn2_b64 exec, exec, s[12:13]
	s_cbranch_execz .LBB67_77
.LBB67_70:                              ; =>This Loop Header: Depth=1
                                        ;     Child Loop BB67_72 Depth 2
                                        ;     Child Loop BB67_76 Depth 2
	v_lshl_add_u32 v2, v0, 3, 0
	ds_read_b64 v[2:3], v2
	v_mov_b32_e32 v4, s8
	s_and_b64 vcc, exec, s[0:1]
	v_mov_b32_e32 v5, s9
	s_mov_b64 s[2:3], 0
	s_cbranch_vccnz .LBB67_74
; %bb.71:                               ;   in Loop: Header=BB67_70 Depth=1
	v_mov_b32_e32 v4, s8
	s_mov_b64 s[16:17], 0
	s_mov_b32 s18, 0
	v_mov_b32_e32 v5, s9
.LBB67_72:                              ;   Parent Loop BB67_70 Depth=1
                                        ; =>  This Inner Loop Header: Depth=2
	v_mov_b32_e32 v18, s18
	ds_read2_b64 v[6:9], v18 offset1:1
	ds_read2_b64 v[10:13], v18 offset0:2 offset1:3
	ds_read2_b64 v[14:17], v18 offset0:4 offset1:5
	;; [unrolled: 1-line block ×3, first 2 shown]
	s_add_u32 s16, s16, 8
	s_waitcnt lgkmcnt(3)
	v_cmp_gt_i64_e32 vcc, v[2:3], v[8:9]
	v_cmp_gt_i64_e64 s[2:3], v[2:3], v[6:7]
	v_cndmask_b32_e64 v7, 0, 1, vcc
	s_waitcnt lgkmcnt(2)
	v_cmp_gt_i64_e32 vcc, v[2:3], v[10:11]
	v_cndmask_b32_e64 v6, 0, 1, s[2:3]
	v_cndmask_b32_e64 v8, 0, 1, vcc
	v_cmp_gt_i64_e32 vcc, v[2:3], v[12:13]
	s_addc_u32 s17, s17, 0
	v_cndmask_b32_e64 v9, 0, 1, vcc
	s_waitcnt lgkmcnt(1)
	v_cmp_gt_i64_e32 vcc, v[2:3], v[14:15]
	s_add_i32 s18, s18, 64
	v_cndmask_b32_e64 v10, 0, 1, vcc
	v_cmp_gt_i64_e32 vcc, v[2:3], v[16:17]
	s_cmp_eq_u64 s[10:11], s[16:17]
	v_cndmask_b32_e64 v11, 0, 1, vcc
	s_waitcnt lgkmcnt(0)
	v_cmp_gt_i64_e32 vcc, v[2:3], v[18:19]
	v_cndmask_b32_e64 v12, 0, 1, vcc
	v_cmp_gt_i64_e32 vcc, v[2:3], v[20:21]
	v_cndmask_b32_e64 v13, 0, 1, vcc
	v_add_co_u32_e32 v4, vcc, v4, v6
	v_addc_co_u32_e32 v5, vcc, 0, v5, vcc
	v_add_co_u32_e32 v4, vcc, v4, v7
	v_addc_co_u32_e32 v5, vcc, 0, v5, vcc
	;; [unrolled: 2-line block ×8, first 2 shown]
	s_cbranch_scc0 .LBB67_72
; %bb.73:                               ;   in Loop: Header=BB67_70 Depth=1
	s_mov_b64 s[2:3], s[10:11]
.LBB67_74:                              ;   in Loop: Header=BB67_70 Depth=1
	s_andn2_b64 vcc, exec, s[14:15]
	s_cbranch_vccnz .LBB67_69
; %bb.75:                               ;   in Loop: Header=BB67_70 Depth=1
	s_lshl_b32 s2, s2, 3
	s_add_i32 s16, s2, 0
	s_mov_b64 s[2:3], s[6:7]
.LBB67_76:                              ;   Parent Loop BB67_70 Depth=1
                                        ; =>  This Inner Loop Header: Depth=2
	v_mov_b32_e32 v6, s16
	ds_read_b64 v[6:7], v6
	s_add_i32 s16, s16, 8
	s_add_u32 s2, s2, -1
	s_addc_u32 s3, s3, -1
	s_cmp_lg_u64 s[2:3], 0
	s_waitcnt lgkmcnt(0)
	v_cmp_gt_i64_e32 vcc, v[2:3], v[6:7]
	v_cndmask_b32_e64 v6, 0, 1, vcc
	v_add_co_u32_e32 v4, vcc, v4, v6
	v_addc_co_u32_e32 v5, vcc, 0, v5, vcc
	s_cbranch_scc1 .LBB67_76
	s_branch .LBB67_69
.LBB67_77:
	s_endpgm
	.section	.rodata,"a",@progbits
	.p2align	6, 0x0
	.amdhsa_kernel _ZN9rocsparseL35csrgemm_symbolic_fill_block_per_rowILj1024ELj64ELj32768ELj137ELj64EllEEvT5_PKS1_S3_PKT4_S3_S6_S3_S6_S3_S6_PS1_21rocsparse_index_base_S8_S8_S8_bb
		.amdhsa_group_segment_fixed_size 0
		.amdhsa_private_segment_fixed_size 0
		.amdhsa_kernarg_size 108
		.amdhsa_user_sgpr_count 6
		.amdhsa_user_sgpr_private_segment_buffer 1
		.amdhsa_user_sgpr_dispatch_ptr 0
		.amdhsa_user_sgpr_queue_ptr 0
		.amdhsa_user_sgpr_kernarg_segment_ptr 1
		.amdhsa_user_sgpr_dispatch_id 0
		.amdhsa_user_sgpr_flat_scratch_init 0
		.amdhsa_user_sgpr_private_segment_size 0
		.amdhsa_uses_dynamic_stack 0
		.amdhsa_system_sgpr_private_segment_wavefront_offset 0
		.amdhsa_system_sgpr_workgroup_id_x 1
		.amdhsa_system_sgpr_workgroup_id_y 0
		.amdhsa_system_sgpr_workgroup_id_z 0
		.amdhsa_system_sgpr_workgroup_info 0
		.amdhsa_system_vgpr_workitem_id 0
		.amdhsa_next_free_vgpr 22
		.amdhsa_next_free_sgpr 63
		.amdhsa_reserve_vcc 1
		.amdhsa_reserve_flat_scratch 0
		.amdhsa_float_round_mode_32 0
		.amdhsa_float_round_mode_16_64 0
		.amdhsa_float_denorm_mode_32 3
		.amdhsa_float_denorm_mode_16_64 3
		.amdhsa_dx10_clamp 1
		.amdhsa_ieee_mode 1
		.amdhsa_fp16_overflow 0
		.amdhsa_exception_fp_ieee_invalid_op 0
		.amdhsa_exception_fp_denorm_src 0
		.amdhsa_exception_fp_ieee_div_zero 0
		.amdhsa_exception_fp_ieee_overflow 0
		.amdhsa_exception_fp_ieee_underflow 0
		.amdhsa_exception_fp_ieee_inexact 0
		.amdhsa_exception_int_div_zero 0
	.end_amdhsa_kernel
	.section	.text._ZN9rocsparseL35csrgemm_symbolic_fill_block_per_rowILj1024ELj64ELj32768ELj137ELj64EllEEvT5_PKS1_S3_PKT4_S3_S6_S3_S6_S3_S6_PS1_21rocsparse_index_base_S8_S8_S8_bb,"axG",@progbits,_ZN9rocsparseL35csrgemm_symbolic_fill_block_per_rowILj1024ELj64ELj32768ELj137ELj64EllEEvT5_PKS1_S3_PKT4_S3_S6_S3_S6_S3_S6_PS1_21rocsparse_index_base_S8_S8_S8_bb,comdat
.Lfunc_end67:
	.size	_ZN9rocsparseL35csrgemm_symbolic_fill_block_per_rowILj1024ELj64ELj32768ELj137ELj64EllEEvT5_PKS1_S3_PKT4_S3_S6_S3_S6_S3_S6_PS1_21rocsparse_index_base_S8_S8_S8_bb, .Lfunc_end67-_ZN9rocsparseL35csrgemm_symbolic_fill_block_per_rowILj1024ELj64ELj32768ELj137ELj64EllEEvT5_PKS1_S3_PKT4_S3_S6_S3_S6_S3_S6_PS1_21rocsparse_index_base_S8_S8_S8_bb
                                        ; -- End function
	.set _ZN9rocsparseL35csrgemm_symbolic_fill_block_per_rowILj1024ELj64ELj32768ELj137ELj64EllEEvT5_PKS1_S3_PKT4_S3_S6_S3_S6_S3_S6_PS1_21rocsparse_index_base_S8_S8_S8_bb.num_vgpr, 22
	.set _ZN9rocsparseL35csrgemm_symbolic_fill_block_per_rowILj1024ELj64ELj32768ELj137ELj64EllEEvT5_PKS1_S3_PKT4_S3_S6_S3_S6_S3_S6_PS1_21rocsparse_index_base_S8_S8_S8_bb.num_agpr, 0
	.set _ZN9rocsparseL35csrgemm_symbolic_fill_block_per_rowILj1024ELj64ELj32768ELj137ELj64EllEEvT5_PKS1_S3_PKT4_S3_S6_S3_S6_S3_S6_PS1_21rocsparse_index_base_S8_S8_S8_bb.numbered_sgpr, 63
	.set _ZN9rocsparseL35csrgemm_symbolic_fill_block_per_rowILj1024ELj64ELj32768ELj137ELj64EllEEvT5_PKS1_S3_PKT4_S3_S6_S3_S6_S3_S6_PS1_21rocsparse_index_base_S8_S8_S8_bb.num_named_barrier, 0
	.set _ZN9rocsparseL35csrgemm_symbolic_fill_block_per_rowILj1024ELj64ELj32768ELj137ELj64EllEEvT5_PKS1_S3_PKT4_S3_S6_S3_S6_S3_S6_PS1_21rocsparse_index_base_S8_S8_S8_bb.private_seg_size, 0
	.set _ZN9rocsparseL35csrgemm_symbolic_fill_block_per_rowILj1024ELj64ELj32768ELj137ELj64EllEEvT5_PKS1_S3_PKT4_S3_S6_S3_S6_S3_S6_PS1_21rocsparse_index_base_S8_S8_S8_bb.uses_vcc, 1
	.set _ZN9rocsparseL35csrgemm_symbolic_fill_block_per_rowILj1024ELj64ELj32768ELj137ELj64EllEEvT5_PKS1_S3_PKT4_S3_S6_S3_S6_S3_S6_PS1_21rocsparse_index_base_S8_S8_S8_bb.uses_flat_scratch, 0
	.set _ZN9rocsparseL35csrgemm_symbolic_fill_block_per_rowILj1024ELj64ELj32768ELj137ELj64EllEEvT5_PKS1_S3_PKT4_S3_S6_S3_S6_S3_S6_PS1_21rocsparse_index_base_S8_S8_S8_bb.has_dyn_sized_stack, 0
	.set _ZN9rocsparseL35csrgemm_symbolic_fill_block_per_rowILj1024ELj64ELj32768ELj137ELj64EllEEvT5_PKS1_S3_PKT4_S3_S6_S3_S6_S3_S6_PS1_21rocsparse_index_base_S8_S8_S8_bb.has_recursion, 0
	.set _ZN9rocsparseL35csrgemm_symbolic_fill_block_per_rowILj1024ELj64ELj32768ELj137ELj64EllEEvT5_PKS1_S3_PKT4_S3_S6_S3_S6_S3_S6_PS1_21rocsparse_index_base_S8_S8_S8_bb.has_indirect_call, 0
	.section	.AMDGPU.csdata,"",@progbits
; Kernel info:
; codeLenInByte = 2904
; TotalNumSgprs: 67
; NumVgprs: 22
; ScratchSize: 0
; MemoryBound: 0
; FloatMode: 240
; IeeeMode: 1
; LDSByteSize: 0 bytes/workgroup (compile time only)
; SGPRBlocks: 8
; VGPRBlocks: 5
; NumSGPRsForWavesPerEU: 67
; NumVGPRsForWavesPerEU: 22
; Occupancy: 10
; WaveLimiterHint : 1
; COMPUTE_PGM_RSRC2:SCRATCH_EN: 0
; COMPUTE_PGM_RSRC2:USER_SGPR: 6
; COMPUTE_PGM_RSRC2:TRAP_HANDLER: 0
; COMPUTE_PGM_RSRC2:TGID_X_EN: 1
; COMPUTE_PGM_RSRC2:TGID_Y_EN: 0
; COMPUTE_PGM_RSRC2:TGID_Z_EN: 0
; COMPUTE_PGM_RSRC2:TIDIG_COMP_CNT: 0
	.section	.text._ZN9rocsparseL45csrgemm_symbolic_fill_block_per_row_multipassILj512ELj16ELj2048ELj32EllEEvT4_PKS1_S3_PKT3_S3_S6_S3_S6_S3_S6_PS1_PS4_21rocsparse_index_base_S9_S9_S9_bb,"axG",@progbits,_ZN9rocsparseL45csrgemm_symbolic_fill_block_per_row_multipassILj512ELj16ELj2048ELj32EllEEvT4_PKS1_S3_PKT3_S3_S6_S3_S6_S3_S6_PS1_PS4_21rocsparse_index_base_S9_S9_S9_bb,comdat
	.globl	_ZN9rocsparseL45csrgemm_symbolic_fill_block_per_row_multipassILj512ELj16ELj2048ELj32EllEEvT4_PKS1_S3_PKT3_S3_S6_S3_S6_S3_S6_PS1_PS4_21rocsparse_index_base_S9_S9_S9_bb ; -- Begin function _ZN9rocsparseL45csrgemm_symbolic_fill_block_per_row_multipassILj512ELj16ELj2048ELj32EllEEvT4_PKS1_S3_PKT3_S3_S6_S3_S6_S3_S6_PS1_PS4_21rocsparse_index_base_S9_S9_S9_bb
	.p2align	8
	.type	_ZN9rocsparseL45csrgemm_symbolic_fill_block_per_row_multipassILj512ELj16ELj2048ELj32EllEEvT4_PKS1_S3_PKT3_S3_S6_S3_S6_S3_S6_PS1_PS4_21rocsparse_index_base_S9_S9_S9_bb,@function
_ZN9rocsparseL45csrgemm_symbolic_fill_block_per_row_multipassILj512ELj16ELj2048ELj32EllEEvT4_PKS1_S3_PKT3_S3_S6_S3_S6_S3_S6_PS1_PS4_21rocsparse_index_base_S9_S9_S9_bb: ; @_ZN9rocsparseL45csrgemm_symbolic_fill_block_per_row_multipassILj512ELj16ELj2048ELj32EllEEvT4_PKS1_S3_PKT3_S3_S6_S3_S6_S3_S6_PS1_PS4_21rocsparse_index_base_S9_S9_S9_bb
; %bb.0:
	s_load_dwordx4 s[0:3], s[4:5], 0x8
	s_load_dword s12, s[4:5], 0x70
	s_load_dwordx2 s[10:11], s[4:5], 0x18
	s_mov_b32 s7, 0
	s_load_dwordx4 s[60:63], s[4:5], 0x60
	s_mov_b64 s[42:43], 0
	s_waitcnt lgkmcnt(0)
	s_load_dwordx2 s[0:1], s[0:1], 0x0
	s_bitcmp1_b32 s12, 0
	s_cselect_b64 s[8:9], -1, 0
	s_waitcnt lgkmcnt(0)
	s_lshl_b64 s[0:1], s[0:1], 3
	s_add_u32 s2, s2, s0
	s_addc_u32 s3, s3, s1
	s_lshl_b64 s[0:1], s[6:7], 3
	s_add_u32 s0, s2, s0
	s_addc_u32 s1, s3, s1
	s_load_dwordx2 s[0:1], s[0:1], 0x0
	s_bitcmp0_b32 s12, 0
	s_mov_b64 s[2:3], 0
	s_cbranch_scc0 .LBB68_3
; %bb.1:
	s_andn2_b64 vcc, exec, s[8:9]
	s_cbranch_vccz .LBB68_4
.LBB68_2:
	s_load_dwordx2 s[64:65], s[4:5], 0x0
	s_waitcnt lgkmcnt(0)
	v_cmp_lt_i64_e64 s[6:7], s[64:65], 1
	s_and_b64 vcc, exec, s[6:7]
	s_cbranch_vccz .LBB68_5
	s_branch .LBB68_65
.LBB68_3:
	s_waitcnt lgkmcnt(0)
	s_lshl_b64 s[2:3], s[0:1], 3
	s_add_u32 s2, s10, s2
	s_addc_u32 s3, s11, s3
	s_load_dwordx2 s[2:3], s[2:3], 0x0
	s_waitcnt lgkmcnt(0)
	s_sub_u32 s2, s2, s60
	s_subb_u32 s3, s3, 0
	s_andn2_b64 vcc, exec, s[8:9]
	s_cbranch_vccnz .LBB68_2
.LBB68_4:
	s_waitcnt lgkmcnt(0)
	s_lshl_b64 s[6:7], s[0:1], 3
	s_add_u32 s6, s10, s6
	s_addc_u32 s7, s11, s7
	s_load_dwordx2 s[6:7], s[6:7], 0x8
	s_waitcnt lgkmcnt(0)
	s_sub_u32 s42, s6, s60
	s_subb_u32 s43, s7, 0
	s_load_dwordx2 s[64:65], s[4:5], 0x0
	s_waitcnt lgkmcnt(0)
	v_cmp_lt_i64_e64 s[6:7], s[64:65], 1
	s_and_b64 vcc, exec, s[6:7]
	s_cbranch_vccnz .LBB68_65
.LBB68_5:
	s_load_dwordx8 s[44:51], s[4:5], 0x40
	s_load_dwordx8 s[52:59], s[4:5], 0x20
	s_bitcmp1_b32 s12, 8
	s_cselect_b64 s[66:67], -1, 0
	s_lshl_b64 s[4:5], s[0:1], 3
	s_waitcnt lgkmcnt(0)
	s_add_u32 s0, s46, s4
	s_addc_u32 s1, s47, s5
	s_load_dwordx2 s[6:7], s[0:1], 0x0
	v_lshrrev_b32_e32 v1, 4, v0
	v_mov_b32_e32 v2, s3
	v_add_co_u32_e32 v1, vcc, s2, v1
	s_waitcnt lgkmcnt(0)
	s_sub_u32 s28, s6, s62
	v_addc_co_u32_e32 v2, vcc, 0, v2, vcc
	s_subb_u32 s29, s7, 0
	v_cmp_gt_i64_e32 vcc, s[42:43], v[1:2]
	s_add_u32 s46, s58, s4
	v_mbcnt_lo_u32_b32 v3, -1, 0
	s_addc_u32 s47, s59, s5
	v_subrev_co_u32_e64 v31, s[2:3], s63, v0
	v_mbcnt_hi_u32_b32 v3, -1, v3
	v_lshrrev_b32_e32 v5, 3, v0
	s_and_b64 s[58:59], s[8:9], vcc
	v_add_co_u32_e32 v34, vcc, s62, v0
	v_subb_co_u32_e64 v32, s[2:3], 0, 0, s[2:3]
	v_sub_u32_e32 v3, 63, v3
	v_and_b32_e32 v33, 60, v5
	v_addc_co_u32_e64 v35, s[26:27], 0, 0, vcc
	v_mov_b32_e32 v5, s28
	v_and_b32_e32 v29, 15, v0
	v_lshrrev_b64 v[3:4], v3, -1
	s_movk_i32 s2, 0x1ff
	s_movk_i32 s4, 0x60
	;; [unrolled: 1-line block ×13, first 2 shown]
	v_mov_b32_e32 v6, s29
	s_movk_i32 s28, 0x1e0
	v_mov_b32_e32 v7, 0
	v_mov_b32_e32 v9, 0x800
	v_cmp_eq_u32_e64 s[0:1], 0, v0
	v_mov_b32_e32 v30, 0
	s_mov_b32 s33, s61
	s_mov_b32 s61, s63
	v_cmp_eq_u32_e64 s[2:3], s2, v0
	v_cmp_gt_u32_e64 s[4:5], s4, v0
	v_cmp_gt_u32_e64 s[6:7], s6, v0
	;; [unrolled: 1-line block ×13, first 2 shown]
	v_or_b32_e32 v36, 0xfffffe00, v0
	v_mov_b32_e32 v8, 0
	v_mov_b32_e32 v10, 0
	;; [unrolled: 1-line block ×3, first 2 shown]
	s_movk_i32 s84, 0x5ff
	v_cmp_eq_u32_e64 s[30:31], 15, v29
	v_cmp_gt_u32_e64 s[34:35], 32, v0
	v_cmp_gt_u32_e64 s[36:37], 64, v0
	s_mov_b64 s[62:63], -1
	s_branch .LBB68_7
.LBB68_6:                               ;   in Loop: Header=BB68_7 Depth=1
	s_or_b64 exec, exec, s[40:41]
	ds_read_b64 v[7:8], v30 offset:10240
	s_waitcnt lgkmcnt(0)
	s_barrier
	v_add_co_u32_e32 v9, vcc, 0x800, v7
	v_addc_co_u32_e32 v10, vcc, 0, v8, vcc
	v_cmp_le_i64_e32 vcc, s[64:65], v[7:8]
	s_cbranch_vccnz .LBB68_65
.LBB68_7:                               ; =>This Loop Header: Depth=1
                                        ;     Child Loop BB68_16 Depth 2
                                        ;       Child Loop BB68_24 Depth 3
                                        ;     Child Loop BB68_44 Depth 2
                                        ;     Child Loop BB68_56 Depth 2
	;; [unrolled: 1-line block ×3, first 2 shown]
	s_and_saveexec_b64 s[38:39], s[62:63]
	s_cbranch_execnz .LBB68_35
; %bb.8:                                ;   in Loop: Header=BB68_7 Depth=1
	s_or_b64 exec, exec, s[38:39]
	s_and_saveexec_b64 s[38:39], s[62:63]
	s_cbranch_execnz .LBB68_36
.LBB68_9:                               ;   in Loop: Header=BB68_7 Depth=1
	s_or_b64 exec, exec, s[38:39]
	s_and_saveexec_b64 s[38:39], s[62:63]
	s_cbranch_execnz .LBB68_37
.LBB68_10:                              ;   in Loop: Header=BB68_7 Depth=1
	s_or_b64 exec, exec, s[38:39]
	s_and_saveexec_b64 s[38:39], s[62:63]
	s_cbranch_execnz .LBB68_38
.LBB68_11:                              ;   in Loop: Header=BB68_7 Depth=1
	s_or_b64 exec, exec, s[38:39]
	s_and_saveexec_b64 s[38:39], s[0:1]
.LBB68_12:                              ;   in Loop: Header=BB68_7 Depth=1
	v_mov_b32_e32 v11, s64
	v_mov_b32_e32 v12, s65
	ds_write_b64 v30, v[11:12] offset:10240
.LBB68_13:                              ;   in Loop: Header=BB68_7 Depth=1
	s_or_b64 exec, exec, s[38:39]
	v_mov_b32_e32 v11, s64
	v_mov_b32_e32 v12, s65
	s_waitcnt lgkmcnt(0)
	s_barrier
	s_and_saveexec_b64 s[68:69], s[58:59]
	s_cbranch_execz .LBB68_40
; %bb.14:                               ;   in Loop: Header=BB68_7 Depth=1
	v_cmp_ne_u64_e64 s[38:39], 0, v[7:8]
	v_mov_b32_e32 v11, s64
	v_mov_b32_e32 v14, v2
	s_mov_b64 s[70:71], 0
	v_mov_b32_e32 v12, s65
	v_mov_b32_e32 v13, v1
	s_branch .LBB68_16
.LBB68_15:                              ;   in Loop: Header=BB68_16 Depth=2
	s_or_b64 exec, exec, s[40:41]
	v_add_co_u32_e32 v13, vcc, 32, v13
	v_addc_co_u32_e32 v14, vcc, 0, v14, vcc
	v_cmp_le_i64_e32 vcc, s[42:43], v[13:14]
	s_or_b64 s[70:71], vcc, s[70:71]
	s_andn2_b64 exec, exec, s[70:71]
	s_cbranch_execz .LBB68_39
.LBB68_16:                              ;   Parent Loop BB68_7 Depth=1
                                        ; =>  This Loop Header: Depth=2
                                        ;       Child Loop BB68_24 Depth 3
	v_lshlrev_b64 v[15:16], 3, v[13:14]
	v_mov_b32_e32 v18, s53
	v_add_co_u32_e32 v17, vcc, s52, v15
	v_addc_co_u32_e32 v18, vcc, v18, v16, vcc
	global_load_dwordx2 v[19:20], v[17:18], off
	s_and_b64 vcc, exec, s[38:39]
	s_cbranch_vccz .LBB68_18
; %bb.17:                               ;   in Loop: Header=BB68_16 Depth=2
	v_mov_b32_e32 v18, s51
	v_add_co_u32_e32 v17, vcc, s50, v15
	v_addc_co_u32_e32 v18, vcc, v18, v16, vcc
	global_load_dwordx2 v[17:18], v[17:18], off
	s_mov_b64 s[40:41], 0
	s_branch .LBB68_19
.LBB68_18:                              ;   in Loop: Header=BB68_16 Depth=2
	s_mov_b64 s[40:41], -1
                                        ; implicit-def: $vgpr17_vgpr18
.LBB68_19:                              ;   in Loop: Header=BB68_16 Depth=2
	s_waitcnt vmcnt(0)
	v_subrev_co_u32_e32 v19, vcc, s60, v19
	v_subbrev_co_u32_e32 v20, vcc, 0, v20, vcc
	v_lshlrev_b64 v[19:20], 3, v[19:20]
	s_andn2_b64 vcc, exec, s[40:41]
	s_cbranch_vccnz .LBB68_21
; %bb.20:                               ;   in Loop: Header=BB68_16 Depth=2
	v_mov_b32_e32 v18, s55
	v_add_co_u32_e32 v17, vcc, s54, v19
	v_addc_co_u32_e32 v18, vcc, v18, v20, vcc
	global_load_dwordx2 v[17:18], v[17:18], off
	s_waitcnt vmcnt(0)
	v_subrev_co_u32_e32 v17, vcc, s33, v17
	v_subbrev_co_u32_e32 v18, vcc, 0, v18, vcc
.LBB68_21:                              ;   in Loop: Header=BB68_16 Depth=2
	v_mov_b32_e32 v21, s55
	v_add_co_u32_e32 v19, vcc, s54, v19
	v_addc_co_u32_e32 v20, vcc, v21, v20, vcc
	global_load_dwordx2 v[19:20], v[19:20], off offset:8
	s_waitcnt vmcnt(0)
	v_subrev_co_u32_e32 v19, vcc, s33, v19
	v_subbrev_co_u32_e32 v20, vcc, 0, v20, vcc
	v_add_co_u32_e32 v17, vcc, v17, v29
	v_addc_co_u32_e32 v18, vcc, 0, v18, vcc
	v_cmp_lt_i64_e32 vcc, v[17:18], v[19:20]
	s_and_saveexec_b64 s[72:73], vcc
	s_cbranch_execz .LBB68_33
; %bb.22:                               ;   in Loop: Header=BB68_16 Depth=2
	v_lshlrev_b64 v[21:22], 3, v[17:18]
	v_mov_b32_e32 v23, s57
	v_add_co_u32_e32 v21, vcc, s56, v21
	v_mov_b32_e32 v28, v18
	v_addc_co_u32_e32 v22, vcc, v23, v22, vcc
	s_mov_b64 s[76:77], 0
	v_mov_b32_e32 v27, v17
                                        ; implicit-def: $sgpr74_sgpr75
                                        ; implicit-def: $sgpr78_sgpr79
	s_branch .LBB68_24
.LBB68_23:                              ;   in Loop: Header=BB68_24 Depth=3
	s_or_b64 exec, exec, s[80:81]
	s_and_b64 s[40:41], exec, s[82:83]
	s_or_b64 s[76:77], s[40:41], s[76:77]
	s_andn2_b64 s[40:41], s[74:75], exec
	s_and_b64 s[74:75], s[78:79], exec
	s_or_b64 s[74:75], s[40:41], s[74:75]
	s_andn2_b64 exec, exec, s[76:77]
	s_cbranch_execz .LBB68_30
.LBB68_24:                              ;   Parent Loop BB68_7 Depth=1
                                        ;     Parent Loop BB68_16 Depth=2
                                        ; =>    This Inner Loop Header: Depth=3
	global_load_dwordx2 v[23:24], v[21:22], off
	v_mov_b32_e32 v25, v27
	v_mov_b32_e32 v26, v28
	s_waitcnt vmcnt(0)
	v_subrev_co_u32_e32 v23, vcc, s33, v23
	v_subbrev_co_u32_e32 v24, vcc, 0, v24, vcc
	v_cmp_lt_i64_e32 vcc, v[23:24], v[7:8]
	v_cmp_ge_i64_e64 s[40:41], v[23:24], v[9:10]
	s_or_b64 s[80:81], vcc, s[40:41]
	s_mov_b64 s[40:41], 0
	s_and_saveexec_b64 s[82:83], s[80:81]
	s_xor_b64 s[80:81], exec, s[82:83]
; %bb.25:                               ;   in Loop: Header=BB68_24 Depth=3
	v_cmp_lt_i64_e32 vcc, v[23:24], v[9:10]
	s_and_b64 s[40:41], vcc, exec
; %bb.26:                               ;   in Loop: Header=BB68_24 Depth=3
	s_andn2_saveexec_b64 s[80:81], s[80:81]
; %bb.27:                               ;   in Loop: Header=BB68_24 Depth=3
	v_sub_u32_e32 v27, v23, v7
	s_or_b64 s[40:41], s[40:41], exec
	ds_write_b8 v27, v37 offset:8192
; %bb.28:                               ;   in Loop: Header=BB68_24 Depth=3
	s_or_b64 exec, exec, s[80:81]
	s_mov_b64 s[82:83], -1
	s_or_b64 s[78:79], s[78:79], exec
                                        ; implicit-def: $vgpr27_vgpr28
	s_and_saveexec_b64 s[80:81], s[40:41]
	s_cbranch_execz .LBB68_23
; %bb.29:                               ;   in Loop: Header=BB68_24 Depth=3
	v_add_co_u32_e32 v27, vcc, 16, v25
	v_addc_co_u32_e32 v28, vcc, 0, v26, vcc
	v_add_co_u32_e32 v21, vcc, 0x80, v21
	v_addc_co_u32_e32 v22, vcc, 0, v22, vcc
	v_cmp_ge_i64_e32 vcc, v[27:28], v[19:20]
	s_andn2_b64 s[78:79], s[78:79], exec
	s_orn2_b64 s[82:83], vcc, exec
	s_branch .LBB68_23
.LBB68_30:                              ;   in Loop: Header=BB68_16 Depth=2
	s_or_b64 exec, exec, s[76:77]
	s_and_saveexec_b64 s[40:41], s[74:75]
	s_xor_b64 s[40:41], exec, s[40:41]
; %bb.31:                               ;   in Loop: Header=BB68_16 Depth=2
	v_cmp_lt_i64_e32 vcc, v[23:24], v[11:12]
	v_mov_b32_e32 v17, v25
	v_cndmask_b32_e32 v12, v12, v24, vcc
	v_cndmask_b32_e32 v11, v11, v23, vcc
	v_mov_b32_e32 v18, v26
; %bb.32:                               ;   in Loop: Header=BB68_16 Depth=2
	s_or_b64 exec, exec, s[40:41]
.LBB68_33:                              ;   in Loop: Header=BB68_16 Depth=2
	s_or_b64 exec, exec, s[72:73]
	v_mov_b32_dpp v19, v17 row_shr:1 row_mask:0xf bank_mask:0xf
	v_mov_b32_dpp v20, v18 row_shr:1 row_mask:0xf bank_mask:0xf
	v_cmp_lt_i64_e32 vcc, v[19:20], v[17:18]
	v_cndmask_b32_e32 v18, v18, v20, vcc
	v_cndmask_b32_e32 v17, v17, v19, vcc
	s_nop 0
	v_mov_b32_dpp v20, v18 row_shr:2 row_mask:0xf bank_mask:0xf
	v_mov_b32_dpp v19, v17 row_shr:2 row_mask:0xf bank_mask:0xf
	v_cmp_lt_i64_e32 vcc, v[19:20], v[17:18]
	v_cndmask_b32_e32 v18, v18, v20, vcc
	v_cndmask_b32_e32 v17, v17, v19, vcc
	s_nop 0
	;; [unrolled: 6-line block ×3, first 2 shown]
	v_mov_b32_dpp v21, v18 row_shr:8 row_mask:0xf bank_mask:0xc
	v_mov_b32_dpp v19, v17 row_shr:8 row_mask:0xf bank_mask:0xc
	s_and_saveexec_b64 s[40:41], s[30:31]
	s_cbranch_execz .LBB68_15
; %bb.34:                               ;   in Loop: Header=BB68_16 Depth=2
	v_mov_b32_e32 v20, v21
	v_cmp_lt_i64_e32 vcc, v[19:20], v[17:18]
	v_cndmask_b32_e32 v18, v18, v21, vcc
	v_cndmask_b32_e32 v17, v17, v19, vcc
	v_mov_b32_e32 v19, s51
	v_add_co_u32_e32 v15, vcc, s50, v15
	v_addc_co_u32_e32 v16, vcc, v19, v16, vcc
	global_store_dwordx2 v[15:16], v[17:18], off
	s_branch .LBB68_15
.LBB68_35:                              ;   in Loop: Header=BB68_7 Depth=1
	ds_write_b8 v0, v30 offset:8192
	s_or_b64 exec, exec, s[38:39]
	s_and_saveexec_b64 s[38:39], s[62:63]
	s_cbranch_execz .LBB68_9
.LBB68_36:                              ;   in Loop: Header=BB68_7 Depth=1
	ds_write_b8 v0, v30 offset:8704
	s_or_b64 exec, exec, s[38:39]
	s_and_saveexec_b64 s[38:39], s[62:63]
	s_cbranch_execz .LBB68_10
.LBB68_37:                              ;   in Loop: Header=BB68_7 Depth=1
	ds_write_b8 v0, v30 offset:9216
	s_or_b64 exec, exec, s[38:39]
	s_and_saveexec_b64 s[38:39], s[62:63]
	s_cbranch_execz .LBB68_11
.LBB68_38:                              ;   in Loop: Header=BB68_7 Depth=1
	ds_write_b8 v0, v30 offset:9728
	s_or_b64 exec, exec, s[38:39]
	s_and_saveexec_b64 s[38:39], s[0:1]
	s_cbranch_execnz .LBB68_12
	s_branch .LBB68_13
.LBB68_39:                              ;   in Loop: Header=BB68_7 Depth=1
	s_or_b64 exec, exec, s[70:71]
.LBB68_40:                              ;   in Loop: Header=BB68_7 Depth=1
	s_or_b64 exec, exec, s[68:69]
	s_andn2_b64 vcc, exec, s[66:67]
	s_cbranch_vccnz .LBB68_54
; %bb.41:                               ;   in Loop: Header=BB68_7 Depth=1
	s_load_dwordx4 s[72:75], s[46:47], 0x0
	s_waitcnt lgkmcnt(0)
	s_sub_u32 s68, s74, s61
	v_mov_b32_e32 v14, s73
	v_add_co_u32_e32 v13, vcc, s72, v31
	s_subb_u32 s69, s75, 0
	v_addc_co_u32_e32 v14, vcc, v14, v32, vcc
	v_cmp_gt_i64_e32 vcc, s[68:69], v[13:14]
	s_and_saveexec_b64 s[40:41], vcc
	s_cbranch_execz .LBB68_53
; %bb.42:                               ;   in Loop: Header=BB68_7 Depth=1
	v_lshlrev_b64 v[15:16], 3, v[13:14]
	v_mov_b32_e32 v17, s45
	v_add_co_u32_e32 v15, vcc, s44, v15
	v_addc_co_u32_e32 v16, vcc, v17, v16, vcc
	s_mov_b64 s[70:71], 0
                                        ; implicit-def: $sgpr72_sgpr73
                                        ; implicit-def: $sgpr74_sgpr75
	s_branch .LBB68_44
.LBB68_43:                              ;   in Loop: Header=BB68_44 Depth=2
	s_or_b64 exec, exec, s[76:77]
	s_and_b64 s[38:39], exec, s[78:79]
	s_or_b64 s[70:71], s[38:39], s[70:71]
	s_andn2_b64 s[38:39], s[72:73], exec
	s_and_b64 s[72:73], s[74:75], exec
	s_or_b64 s[72:73], s[38:39], s[72:73]
	s_andn2_b64 exec, exec, s[70:71]
	s_cbranch_execz .LBB68_50
.LBB68_44:                              ;   Parent Loop BB68_7 Depth=1
                                        ; =>  This Inner Loop Header: Depth=2
	global_load_dwordx2 v[17:18], v[15:16], off
	s_waitcnt vmcnt(0)
	v_subrev_co_u32_e32 v17, vcc, s61, v17
	v_subbrev_co_u32_e32 v18, vcc, 0, v18, vcc
	v_cmp_lt_i64_e32 vcc, v[17:18], v[7:8]
	v_cmp_ge_i64_e64 s[38:39], v[17:18], v[9:10]
	s_or_b64 s[76:77], vcc, s[38:39]
	s_mov_b64 s[38:39], 0
	s_and_saveexec_b64 s[78:79], s[76:77]
	s_xor_b64 s[76:77], exec, s[78:79]
; %bb.45:                               ;   in Loop: Header=BB68_44 Depth=2
	v_cmp_lt_i64_e32 vcc, v[17:18], v[9:10]
	s_and_b64 s[38:39], vcc, exec
; %bb.46:                               ;   in Loop: Header=BB68_44 Depth=2
	s_andn2_saveexec_b64 s[76:77], s[76:77]
; %bb.47:                               ;   in Loop: Header=BB68_44 Depth=2
	v_sub_u32_e32 v19, v17, v7
	s_or_b64 s[38:39], s[38:39], exec
	ds_write_b8 v19, v37 offset:8192
; %bb.48:                               ;   in Loop: Header=BB68_44 Depth=2
	s_or_b64 exec, exec, s[76:77]
	s_mov_b64 s[78:79], -1
	s_or_b64 s[74:75], s[74:75], exec
	s_and_saveexec_b64 s[76:77], s[38:39]
	s_cbranch_execz .LBB68_43
; %bb.49:                               ;   in Loop: Header=BB68_44 Depth=2
	v_add_co_u32_e32 v13, vcc, 0x200, v13
	v_addc_co_u32_e32 v14, vcc, 0, v14, vcc
	v_add_co_u32_e32 v15, vcc, 0x1000, v15
	v_addc_co_u32_e32 v16, vcc, 0, v16, vcc
	v_cmp_le_i64_e32 vcc, s[68:69], v[13:14]
	s_andn2_b64 s[74:75], s[74:75], exec
	s_orn2_b64 s[78:79], vcc, exec
	s_branch .LBB68_43
.LBB68_50:                              ;   in Loop: Header=BB68_7 Depth=1
	s_or_b64 exec, exec, s[70:71]
	s_and_saveexec_b64 s[38:39], s[72:73]
	s_xor_b64 s[38:39], exec, s[38:39]
; %bb.51:                               ;   in Loop: Header=BB68_7 Depth=1
	v_cmp_lt_i64_e32 vcc, v[17:18], v[11:12]
	v_cndmask_b32_e32 v12, v12, v18, vcc
	v_cndmask_b32_e32 v11, v11, v17, vcc
; %bb.52:                               ;   in Loop: Header=BB68_7 Depth=1
	s_or_b64 exec, exec, s[38:39]
.LBB68_53:                              ;   in Loop: Header=BB68_7 Depth=1
	s_or_b64 exec, exec, s[40:41]
.LBB68_54:                              ;   in Loop: Header=BB68_7 Depth=1
	v_mov_b32_dpp v9, v11 row_shr:1 row_mask:0xf bank_mask:0xf
	v_mov_b32_dpp v10, v12 row_shr:1 row_mask:0xf bank_mask:0xf
	v_cmp_lt_i64_e32 vcc, v[9:10], v[11:12]
	v_cndmask_b32_e32 v10, v12, v10, vcc
	v_cndmask_b32_e32 v9, v11, v9, vcc
	s_nop 0
	v_mov_b32_dpp v12, v10 row_shr:2 row_mask:0xf bank_mask:0xf
	v_mov_b32_dpp v11, v9 row_shr:2 row_mask:0xf bank_mask:0xf
	v_cmp_lt_i64_e32 vcc, v[11:12], v[9:10]
	v_cndmask_b32_e32 v10, v10, v12, vcc
	v_cndmask_b32_e32 v9, v9, v11, vcc
	s_nop 0
	;; [unrolled: 6-line block ×3, first 2 shown]
	v_mov_b32_dpp v13, v10 row_shr:8 row_mask:0xf bank_mask:0xc
	v_mov_b32_dpp v11, v9 row_shr:8 row_mask:0xf bank_mask:0xc
	s_and_saveexec_b64 s[38:39], s[30:31]
	s_cbranch_execz .LBB68_59
; %bb.55:                               ;   in Loop: Header=BB68_7 Depth=1
	v_mov_b32_e32 v12, v13
	v_cmp_lt_i64_e32 vcc, v[11:12], v[9:10]
	s_mov_b64 s[68:69], exec
	v_cndmask_b32_e32 v10, v10, v13, vcc
	v_cndmask_b32_e32 v9, v9, v11, vcc
	s_mov_b64 s[40:41], -1
.LBB68_56:                              ;   Parent Loop BB68_7 Depth=1
                                        ; =>  This Inner Loop Header: Depth=2
	s_ff1_i32_b64 s72, s[68:69]
	v_readlane_b32 s73, v10, s72
	v_readlane_b32 s74, v9, s72
	v_mov_b32_e32 v11, s74
	v_mov_b32_e32 v12, s73
	v_cmp_lt_u64_e32 vcc, s[40:41], v[11:12]
	s_and_b64 s[70:71], vcc, exec
	s_cselect_b32 s41, s41, s73
	s_cselect_b32 s40, s40, s74
	s_lshl_b64 s[70:71], 1, s72
	s_andn2_b64 s[68:69], s[68:69], s[70:71]
	s_cmp_lg_u64 s[68:69], 0
	s_cbranch_scc1 .LBB68_56
; %bb.57:                               ;   in Loop: Header=BB68_7 Depth=1
	v_mbcnt_lo_u32_b32 v9, exec_lo, 0
	v_mbcnt_hi_u32_b32 v9, exec_hi, v9
	v_cmp_eq_u32_e32 vcc, 0, v9
	s_and_saveexec_b64 s[68:69], vcc
	s_xor_b64 s[68:69], exec, s[68:69]
; %bb.58:                               ;   in Loop: Header=BB68_7 Depth=1
	v_mov_b32_e32 v9, s40
	v_mov_b32_e32 v10, s41
	ds_min_u64 v30, v[9:10] offset:10240
.LBB68_59:                              ;   in Loop: Header=BB68_7 Depth=1
	s_or_b64 exec, exec, s[38:39]
	v_add_co_u32_e32 v7, vcc, v34, v7
	v_addc_co_u32_e32 v8, vcc, v35, v8, vcc
	s_mov_b64 s[40:41], 0
	v_mov_b32_e32 v11, v36
	s_waitcnt vmcnt(0) lgkmcnt(0)
	s_barrier
	s_branch .LBB68_61
.LBB68_60:                              ;   in Loop: Header=BB68_61 Depth=2
	s_or_b64 exec, exec, s[38:39]
	s_waitcnt vmcnt(0) lgkmcnt(0)
	s_barrier
	ds_read_b32 v9, v30 offset:60
	v_add_u32_e32 v11, 0x200, v11
	v_cmp_lt_u32_e64 s[38:39], s84, v11
	s_or_b64 s[40:41], s[38:39], s[40:41]
	s_waitcnt lgkmcnt(0)
	v_ashrrev_i32_e32 v10, 31, v9
	v_add_co_u32_e32 v5, vcc, v5, v9
	v_addc_co_u32_e32 v6, vcc, v6, v10, vcc
	v_add_co_u32_e32 v7, vcc, 0x200, v7
	v_addc_co_u32_e32 v8, vcc, 0, v8, vcc
	s_andn2_b64 exec, exec, s[40:41]
	s_cbranch_execz .LBB68_6
.LBB68_61:                              ;   Parent Loop BB68_7 Depth=1
                                        ; =>  This Inner Loop Header: Depth=2
	ds_read_u8 v10, v11 offset:8704
	s_waitcnt lgkmcnt(0)
	s_barrier
	v_cmp_ne_u16_e32 vcc, 0, v10
	s_bcnt1_i32_b64 s38, vcc
	v_and_b32_e32 v12, vcc_lo, v3
	v_bcnt_u32_b32 v16, v12, 0
	v_mov_b32_e32 v12, s38
	ds_write_b32 v33, v12
	s_waitcnt lgkmcnt(0)
	s_barrier
	ds_read_b128 v[12:15], v30
	v_and_b32_e32 v9, vcc_hi, v4
	v_bcnt_u32_b32 v9, v9, v16
	ds_read_b128 v[16:19], v30 offset:16
	ds_read_b128 v[20:23], v30 offset:32
	ds_read_b96 v[24:26], v30 offset:48
	v_and_b32_e32 v10, 1, v10
	s_waitcnt lgkmcnt(3)
	v_cndmask_b32_e64 v12, v12, 0, s[34:35]
	v_add_u32_e32 v9, v12, v9
	v_cndmask_b32_e64 v12, v13, 0, s[36:37]
	v_cndmask_b32_e64 v13, v14, 0, s[4:5]
	v_add3_u32 v9, v9, v12, v13
	v_cndmask_b32_e64 v12, v15, 0, s[6:7]
	s_waitcnt lgkmcnt(2)
	v_cndmask_b32_e64 v13, v16, 0, s[8:9]
	v_add3_u32 v9, v9, v12, v13
	v_cndmask_b32_e64 v12, v17, 0, s[10:11]
	v_cndmask_b32_e64 v13, v18, 0, s[12:13]
	v_add3_u32 v9, v9, v12, v13
	v_cndmask_b32_e64 v12, v19, 0, s[14:15]
	s_waitcnt lgkmcnt(1)
	v_cndmask_b32_e64 v13, v20, 0, s[16:17]
	v_add3_u32 v9, v9, v12, v13
	;; [unrolled: 7-line block ×3, first 2 shown]
	v_cndmask_b32_e64 v12, v25, 0, s[26:27]
	v_cndmask_b32_e64 v13, v26, 0, s[28:29]
	v_add3_u32 v9, v9, v12, v13
	v_cmp_eq_u32_e32 vcc, 1, v10
	s_and_saveexec_b64 s[38:39], vcc
	s_cbranch_execz .LBB68_63
; %bb.62:                               ;   in Loop: Header=BB68_61 Depth=2
	v_lshlrev_b64 v[12:13], 3, v[5:6]
	v_mov_b32_e32 v10, s49
	v_add_co_u32_e32 v14, vcc, s48, v12
	v_addc_co_u32_e32 v15, vcc, v10, v13, vcc
	v_ashrrev_i32_e32 v10, 31, v9
	v_lshlrev_b64 v[12:13], 3, v[9:10]
	v_add_co_u32_e32 v12, vcc, v14, v12
	v_addc_co_u32_e32 v13, vcc, v15, v13, vcc
	global_store_dwordx2 v[12:13], v[7:8], off offset:-8
.LBB68_63:                              ;   in Loop: Header=BB68_61 Depth=2
	s_or_b64 exec, exec, s[38:39]
	s_and_saveexec_b64 s[38:39], s[2:3]
	s_cbranch_execz .LBB68_60
; %bb.64:                               ;   in Loop: Header=BB68_61 Depth=2
	ds_write_b32 v30, v9 offset:60
	s_branch .LBB68_60
.LBB68_65:
	s_endpgm
	.section	.rodata,"a",@progbits
	.p2align	6, 0x0
	.amdhsa_kernel _ZN9rocsparseL45csrgemm_symbolic_fill_block_per_row_multipassILj512ELj16ELj2048ELj32EllEEvT4_PKS1_S3_PKT3_S3_S6_S3_S6_S3_S6_PS1_PS4_21rocsparse_index_base_S9_S9_S9_bb
		.amdhsa_group_segment_fixed_size 10248
		.amdhsa_private_segment_fixed_size 0
		.amdhsa_kernarg_size 116
		.amdhsa_user_sgpr_count 6
		.amdhsa_user_sgpr_private_segment_buffer 1
		.amdhsa_user_sgpr_dispatch_ptr 0
		.amdhsa_user_sgpr_queue_ptr 0
		.amdhsa_user_sgpr_kernarg_segment_ptr 1
		.amdhsa_user_sgpr_dispatch_id 0
		.amdhsa_user_sgpr_flat_scratch_init 0
		.amdhsa_user_sgpr_private_segment_size 0
		.amdhsa_uses_dynamic_stack 0
		.amdhsa_system_sgpr_private_segment_wavefront_offset 0
		.amdhsa_system_sgpr_workgroup_id_x 1
		.amdhsa_system_sgpr_workgroup_id_y 0
		.amdhsa_system_sgpr_workgroup_id_z 0
		.amdhsa_system_sgpr_workgroup_info 0
		.amdhsa_system_vgpr_workitem_id 0
		.amdhsa_next_free_vgpr 38
		.amdhsa_next_free_sgpr 85
		.amdhsa_reserve_vcc 1
		.amdhsa_reserve_flat_scratch 0
		.amdhsa_float_round_mode_32 0
		.amdhsa_float_round_mode_16_64 0
		.amdhsa_float_denorm_mode_32 3
		.amdhsa_float_denorm_mode_16_64 3
		.amdhsa_dx10_clamp 1
		.amdhsa_ieee_mode 1
		.amdhsa_fp16_overflow 0
		.amdhsa_exception_fp_ieee_invalid_op 0
		.amdhsa_exception_fp_denorm_src 0
		.amdhsa_exception_fp_ieee_div_zero 0
		.amdhsa_exception_fp_ieee_overflow 0
		.amdhsa_exception_fp_ieee_underflow 0
		.amdhsa_exception_fp_ieee_inexact 0
		.amdhsa_exception_int_div_zero 0
	.end_amdhsa_kernel
	.section	.text._ZN9rocsparseL45csrgemm_symbolic_fill_block_per_row_multipassILj512ELj16ELj2048ELj32EllEEvT4_PKS1_S3_PKT3_S3_S6_S3_S6_S3_S6_PS1_PS4_21rocsparse_index_base_S9_S9_S9_bb,"axG",@progbits,_ZN9rocsparseL45csrgemm_symbolic_fill_block_per_row_multipassILj512ELj16ELj2048ELj32EllEEvT4_PKS1_S3_PKT3_S3_S6_S3_S6_S3_S6_PS1_PS4_21rocsparse_index_base_S9_S9_S9_bb,comdat
.Lfunc_end68:
	.size	_ZN9rocsparseL45csrgemm_symbolic_fill_block_per_row_multipassILj512ELj16ELj2048ELj32EllEEvT4_PKS1_S3_PKT3_S3_S6_S3_S6_S3_S6_PS1_PS4_21rocsparse_index_base_S9_S9_S9_bb, .Lfunc_end68-_ZN9rocsparseL45csrgemm_symbolic_fill_block_per_row_multipassILj512ELj16ELj2048ELj32EllEEvT4_PKS1_S3_PKT3_S3_S6_S3_S6_S3_S6_PS1_PS4_21rocsparse_index_base_S9_S9_S9_bb
                                        ; -- End function
	.set _ZN9rocsparseL45csrgemm_symbolic_fill_block_per_row_multipassILj512ELj16ELj2048ELj32EllEEvT4_PKS1_S3_PKT3_S3_S6_S3_S6_S3_S6_PS1_PS4_21rocsparse_index_base_S9_S9_S9_bb.num_vgpr, 38
	.set _ZN9rocsparseL45csrgemm_symbolic_fill_block_per_row_multipassILj512ELj16ELj2048ELj32EllEEvT4_PKS1_S3_PKT3_S3_S6_S3_S6_S3_S6_PS1_PS4_21rocsparse_index_base_S9_S9_S9_bb.num_agpr, 0
	.set _ZN9rocsparseL45csrgemm_symbolic_fill_block_per_row_multipassILj512ELj16ELj2048ELj32EllEEvT4_PKS1_S3_PKT3_S3_S6_S3_S6_S3_S6_PS1_PS4_21rocsparse_index_base_S9_S9_S9_bb.numbered_sgpr, 85
	.set _ZN9rocsparseL45csrgemm_symbolic_fill_block_per_row_multipassILj512ELj16ELj2048ELj32EllEEvT4_PKS1_S3_PKT3_S3_S6_S3_S6_S3_S6_PS1_PS4_21rocsparse_index_base_S9_S9_S9_bb.num_named_barrier, 0
	.set _ZN9rocsparseL45csrgemm_symbolic_fill_block_per_row_multipassILj512ELj16ELj2048ELj32EllEEvT4_PKS1_S3_PKT3_S3_S6_S3_S6_S3_S6_PS1_PS4_21rocsparse_index_base_S9_S9_S9_bb.private_seg_size, 0
	.set _ZN9rocsparseL45csrgemm_symbolic_fill_block_per_row_multipassILj512ELj16ELj2048ELj32EllEEvT4_PKS1_S3_PKT3_S3_S6_S3_S6_S3_S6_PS1_PS4_21rocsparse_index_base_S9_S9_S9_bb.uses_vcc, 1
	.set _ZN9rocsparseL45csrgemm_symbolic_fill_block_per_row_multipassILj512ELj16ELj2048ELj32EllEEvT4_PKS1_S3_PKT3_S3_S6_S3_S6_S3_S6_PS1_PS4_21rocsparse_index_base_S9_S9_S9_bb.uses_flat_scratch, 0
	.set _ZN9rocsparseL45csrgemm_symbolic_fill_block_per_row_multipassILj512ELj16ELj2048ELj32EllEEvT4_PKS1_S3_PKT3_S3_S6_S3_S6_S3_S6_PS1_PS4_21rocsparse_index_base_S9_S9_S9_bb.has_dyn_sized_stack, 0
	.set _ZN9rocsparseL45csrgemm_symbolic_fill_block_per_row_multipassILj512ELj16ELj2048ELj32EllEEvT4_PKS1_S3_PKT3_S3_S6_S3_S6_S3_S6_PS1_PS4_21rocsparse_index_base_S9_S9_S9_bb.has_recursion, 0
	.set _ZN9rocsparseL45csrgemm_symbolic_fill_block_per_row_multipassILj512ELj16ELj2048ELj32EllEEvT4_PKS1_S3_PKT3_S3_S6_S3_S6_S3_S6_PS1_PS4_21rocsparse_index_base_S9_S9_S9_bb.has_indirect_call, 0
	.section	.AMDGPU.csdata,"",@progbits
; Kernel info:
; codeLenInByte = 2580
; TotalNumSgprs: 89
; NumVgprs: 38
; ScratchSize: 0
; MemoryBound: 0
; FloatMode: 240
; IeeeMode: 1
; LDSByteSize: 10248 bytes/workgroup (compile time only)
; SGPRBlocks: 11
; VGPRBlocks: 9
; NumSGPRsForWavesPerEU: 89
; NumVGPRsForWavesPerEU: 38
; Occupancy: 6
; WaveLimiterHint : 1
; COMPUTE_PGM_RSRC2:SCRATCH_EN: 0
; COMPUTE_PGM_RSRC2:USER_SGPR: 6
; COMPUTE_PGM_RSRC2:TRAP_HANDLER: 0
; COMPUTE_PGM_RSRC2:TGID_X_EN: 1
; COMPUTE_PGM_RSRC2:TGID_Y_EN: 0
; COMPUTE_PGM_RSRC2:TGID_Z_EN: 0
; COMPUTE_PGM_RSRC2:TIDIG_COMP_CNT: 0
	.section	.text._ZN9rocsparseL45csrgemm_symbolic_fill_block_per_row_multipassILj512ELj16ELj2048ELj64EllEEvT4_PKS1_S3_PKT3_S3_S6_S3_S6_S3_S6_PS1_PS4_21rocsparse_index_base_S9_S9_S9_bb,"axG",@progbits,_ZN9rocsparseL45csrgemm_symbolic_fill_block_per_row_multipassILj512ELj16ELj2048ELj64EllEEvT4_PKS1_S3_PKT3_S3_S6_S3_S6_S3_S6_PS1_PS4_21rocsparse_index_base_S9_S9_S9_bb,comdat
	.globl	_ZN9rocsparseL45csrgemm_symbolic_fill_block_per_row_multipassILj512ELj16ELj2048ELj64EllEEvT4_PKS1_S3_PKT3_S3_S6_S3_S6_S3_S6_PS1_PS4_21rocsparse_index_base_S9_S9_S9_bb ; -- Begin function _ZN9rocsparseL45csrgemm_symbolic_fill_block_per_row_multipassILj512ELj16ELj2048ELj64EllEEvT4_PKS1_S3_PKT3_S3_S6_S3_S6_S3_S6_PS1_PS4_21rocsparse_index_base_S9_S9_S9_bb
	.p2align	8
	.type	_ZN9rocsparseL45csrgemm_symbolic_fill_block_per_row_multipassILj512ELj16ELj2048ELj64EllEEvT4_PKS1_S3_PKT3_S3_S6_S3_S6_S3_S6_PS1_PS4_21rocsparse_index_base_S9_S9_S9_bb,@function
_ZN9rocsparseL45csrgemm_symbolic_fill_block_per_row_multipassILj512ELj16ELj2048ELj64EllEEvT4_PKS1_S3_PKT3_S3_S6_S3_S6_S3_S6_PS1_PS4_21rocsparse_index_base_S9_S9_S9_bb: ; @_ZN9rocsparseL45csrgemm_symbolic_fill_block_per_row_multipassILj512ELj16ELj2048ELj64EllEEvT4_PKS1_S3_PKT3_S3_S6_S3_S6_S3_S6_PS1_PS4_21rocsparse_index_base_S9_S9_S9_bb
; %bb.0:
	s_load_dwordx4 s[0:3], s[4:5], 0x8
	s_load_dword s12, s[4:5], 0x70
	s_load_dwordx2 s[10:11], s[4:5], 0x18
	s_mov_b32 s7, 0
	s_load_dwordx4 s[44:47], s[4:5], 0x60
	s_mov_b64 s[34:35], 0
	s_waitcnt lgkmcnt(0)
	s_load_dwordx2 s[0:1], s[0:1], 0x0
	s_bitcmp1_b32 s12, 0
	s_cselect_b64 s[8:9], -1, 0
	s_waitcnt lgkmcnt(0)
	s_lshl_b64 s[0:1], s[0:1], 3
	s_add_u32 s2, s2, s0
	s_addc_u32 s3, s3, s1
	s_lshl_b64 s[0:1], s[6:7], 3
	s_add_u32 s0, s2, s0
	s_addc_u32 s1, s3, s1
	s_load_dwordx2 s[0:1], s[0:1], 0x0
	s_bitcmp0_b32 s12, 0
	s_mov_b64 s[2:3], 0
	s_cbranch_scc0 .LBB69_3
; %bb.1:
	s_andn2_b64 vcc, exec, s[8:9]
	s_cbranch_vccz .LBB69_4
.LBB69_2:
	s_load_dwordx2 s[48:49], s[4:5], 0x0
	s_waitcnt lgkmcnt(0)
	v_cmp_lt_i64_e64 s[6:7], s[48:49], 1
	s_and_b64 vcc, exec, s[6:7]
	s_cbranch_vccz .LBB69_5
	s_branch .LBB69_65
.LBB69_3:
	s_waitcnt lgkmcnt(0)
	s_lshl_b64 s[2:3], s[0:1], 3
	s_add_u32 s2, s10, s2
	s_addc_u32 s3, s11, s3
	s_load_dwordx2 s[2:3], s[2:3], 0x0
	s_waitcnt lgkmcnt(0)
	s_sub_u32 s2, s2, s44
	s_subb_u32 s3, s3, 0
	s_andn2_b64 vcc, exec, s[8:9]
	s_cbranch_vccnz .LBB69_2
.LBB69_4:
	s_waitcnt lgkmcnt(0)
	s_lshl_b64 s[6:7], s[0:1], 3
	s_add_u32 s6, s10, s6
	s_addc_u32 s7, s11, s7
	s_load_dwordx2 s[6:7], s[6:7], 0x8
	s_waitcnt lgkmcnt(0)
	s_sub_u32 s34, s6, s44
	s_subb_u32 s35, s7, 0
	s_load_dwordx2 s[48:49], s[4:5], 0x0
	s_waitcnt lgkmcnt(0)
	v_cmp_lt_i64_e64 s[6:7], s[48:49], 1
	s_and_b64 vcc, exec, s[6:7]
	s_cbranch_vccnz .LBB69_65
.LBB69_5:
	s_load_dwordx8 s[24:31], s[4:5], 0x40
	s_load_dwordx8 s[36:43], s[4:5], 0x20
	s_bitcmp1_b32 s12, 8
	s_cselect_b64 s[50:51], -1, 0
	s_lshl_b64 s[4:5], s[0:1], 3
	s_waitcnt lgkmcnt(0)
	s_add_u32 s0, s26, s4
	s_addc_u32 s1, s27, s5
	s_load_dwordx2 s[6:7], s[0:1], 0x0
	v_lshrrev_b32_e32 v5, 4, v0
	v_mov_b32_e32 v2, s3
	v_add_co_u32_e32 v1, vcc, s2, v5
	s_waitcnt lgkmcnt(0)
	s_sub_u32 s20, s6, s46
	s_subb_u32 s21, s7, 0
	v_addc_co_u32_e32 v2, vcc, 0, v2, vcc
	s_add_u32 s26, s42, s4
	v_mbcnt_lo_u32_b32 v3, -1, 0
	v_cmp_gt_i64_e32 vcc, s[34:35], v[1:2]
	s_addc_u32 s27, s43, s5
	v_subrev_co_u32_e64 v31, s[4:5], s47, v0
	v_mbcnt_hi_u32_b32 v3, -1, v3
	v_subb_co_u32_e64 v32, s[4:5], 0, 0, s[4:5]
	v_sub_u32_e32 v3, 63, v3
	v_and_b32_e32 v29, 15, v0
	v_lshrrev_b64 v[3:4], v3, -1
	v_and_b32_e32 v33, 28, v5
	s_movk_i32 s4, 0x1ff
	s_and_b64 s[42:43], s[8:9], vcc
	s_movk_i32 s8, 0x80
	s_movk_i32 s10, 0xc0
	;; [unrolled: 1-line block ×6, first 2 shown]
	v_add_co_u32_e32 v34, vcc, s46, v0
	v_mov_b32_e32 v7, 0
	v_mov_b32_e32 v9, 0x800
	v_mov_b32_e32 v5, s20
	v_cmp_eq_u32_e64 s[0:1], 0, v0
	v_mov_b32_e32 v30, 0
	s_mov_b32 s33, s45
	v_cmp_eq_u32_e64 s[2:3], 15, v29
	s_mov_b32 s45, s47
	v_cmp_eq_u32_e64 s[4:5], s4, v0
	v_cmp_gt_u32_e64 s[6:7], 64, v0
	v_cmp_gt_u32_e64 s[8:9], s8, v0
	;; [unrolled: 1-line block ×7, first 2 shown]
	s_mov_b64 s[52:53], -1
	v_addc_co_u32_e64 v35, s[22:23], 0, 0, vcc
	v_or_b32_e32 v36, 0xfffffe00, v0
	v_mov_b32_e32 v8, 0
	v_mov_b32_e32 v10, 0
	;; [unrolled: 1-line block ×4, first 2 shown]
	s_movk_i32 s68, 0x5ff
	s_branch .LBB69_7
.LBB69_6:                               ;   in Loop: Header=BB69_7 Depth=1
	s_or_b64 exec, exec, s[22:23]
	ds_read_b64 v[7:8], v30 offset:10240
	s_waitcnt lgkmcnt(0)
	s_barrier
	v_add_co_u32_e32 v9, vcc, 0x800, v7
	v_addc_co_u32_e32 v10, vcc, 0, v8, vcc
	v_cmp_le_i64_e32 vcc, s[48:49], v[7:8]
	s_cbranch_vccnz .LBB69_65
.LBB69_7:                               ; =>This Loop Header: Depth=1
                                        ;     Child Loop BB69_16 Depth 2
                                        ;       Child Loop BB69_24 Depth 3
                                        ;     Child Loop BB69_44 Depth 2
                                        ;     Child Loop BB69_56 Depth 2
	;; [unrolled: 1-line block ×3, first 2 shown]
	s_and_saveexec_b64 s[20:21], s[52:53]
	s_cbranch_execnz .LBB69_35
; %bb.8:                                ;   in Loop: Header=BB69_7 Depth=1
	s_or_b64 exec, exec, s[20:21]
	s_and_saveexec_b64 s[20:21], s[52:53]
	s_cbranch_execnz .LBB69_36
.LBB69_9:                               ;   in Loop: Header=BB69_7 Depth=1
	s_or_b64 exec, exec, s[20:21]
	s_and_saveexec_b64 s[20:21], s[52:53]
	s_cbranch_execnz .LBB69_37
.LBB69_10:                              ;   in Loop: Header=BB69_7 Depth=1
	s_or_b64 exec, exec, s[20:21]
	s_and_saveexec_b64 s[20:21], s[52:53]
	s_cbranch_execnz .LBB69_38
.LBB69_11:                              ;   in Loop: Header=BB69_7 Depth=1
	s_or_b64 exec, exec, s[20:21]
	s_and_saveexec_b64 s[20:21], s[0:1]
.LBB69_12:                              ;   in Loop: Header=BB69_7 Depth=1
	v_mov_b32_e32 v11, s48
	v_mov_b32_e32 v12, s49
	ds_write_b64 v30, v[11:12] offset:10240
.LBB69_13:                              ;   in Loop: Header=BB69_7 Depth=1
	s_or_b64 exec, exec, s[20:21]
	v_mov_b32_e32 v11, s48
	v_mov_b32_e32 v12, s49
	s_waitcnt lgkmcnt(0)
	s_barrier
	s_and_saveexec_b64 s[46:47], s[42:43]
	s_cbranch_execz .LBB69_40
; %bb.14:                               ;   in Loop: Header=BB69_7 Depth=1
	v_cmp_ne_u64_e64 s[20:21], 0, v[7:8]
	v_mov_b32_e32 v11, s48
	v_mov_b32_e32 v14, v2
	s_mov_b64 s[54:55], 0
	v_mov_b32_e32 v12, s49
	v_mov_b32_e32 v13, v1
	s_branch .LBB69_16
.LBB69_15:                              ;   in Loop: Header=BB69_16 Depth=2
	s_or_b64 exec, exec, s[22:23]
	v_add_co_u32_e32 v13, vcc, 32, v13
	v_addc_co_u32_e32 v14, vcc, 0, v14, vcc
	v_cmp_le_i64_e32 vcc, s[34:35], v[13:14]
	s_or_b64 s[54:55], vcc, s[54:55]
	s_andn2_b64 exec, exec, s[54:55]
	s_cbranch_execz .LBB69_39
.LBB69_16:                              ;   Parent Loop BB69_7 Depth=1
                                        ; =>  This Loop Header: Depth=2
                                        ;       Child Loop BB69_24 Depth 3
	v_lshlrev_b64 v[15:16], 3, v[13:14]
	v_mov_b32_e32 v18, s37
	v_add_co_u32_e32 v17, vcc, s36, v15
	v_addc_co_u32_e32 v18, vcc, v18, v16, vcc
	global_load_dwordx2 v[19:20], v[17:18], off
	s_and_b64 vcc, exec, s[20:21]
	s_cbranch_vccz .LBB69_18
; %bb.17:                               ;   in Loop: Header=BB69_16 Depth=2
	v_mov_b32_e32 v18, s31
	v_add_co_u32_e32 v17, vcc, s30, v15
	v_addc_co_u32_e32 v18, vcc, v18, v16, vcc
	global_load_dwordx2 v[17:18], v[17:18], off
	s_mov_b64 s[22:23], 0
	s_branch .LBB69_19
.LBB69_18:                              ;   in Loop: Header=BB69_16 Depth=2
	s_mov_b64 s[22:23], -1
                                        ; implicit-def: $vgpr17_vgpr18
.LBB69_19:                              ;   in Loop: Header=BB69_16 Depth=2
	s_waitcnt vmcnt(0)
	v_subrev_co_u32_e32 v19, vcc, s44, v19
	v_subbrev_co_u32_e32 v20, vcc, 0, v20, vcc
	v_lshlrev_b64 v[19:20], 3, v[19:20]
	s_andn2_b64 vcc, exec, s[22:23]
	s_cbranch_vccnz .LBB69_21
; %bb.20:                               ;   in Loop: Header=BB69_16 Depth=2
	v_mov_b32_e32 v18, s39
	v_add_co_u32_e32 v17, vcc, s38, v19
	v_addc_co_u32_e32 v18, vcc, v18, v20, vcc
	global_load_dwordx2 v[17:18], v[17:18], off
	s_waitcnt vmcnt(0)
	v_subrev_co_u32_e32 v17, vcc, s33, v17
	v_subbrev_co_u32_e32 v18, vcc, 0, v18, vcc
.LBB69_21:                              ;   in Loop: Header=BB69_16 Depth=2
	v_mov_b32_e32 v21, s39
	v_add_co_u32_e32 v19, vcc, s38, v19
	v_addc_co_u32_e32 v20, vcc, v21, v20, vcc
	global_load_dwordx2 v[19:20], v[19:20], off offset:8
	s_waitcnt vmcnt(0)
	v_subrev_co_u32_e32 v19, vcc, s33, v19
	v_subbrev_co_u32_e32 v20, vcc, 0, v20, vcc
	v_add_co_u32_e32 v17, vcc, v17, v29
	v_addc_co_u32_e32 v18, vcc, 0, v18, vcc
	v_cmp_lt_i64_e32 vcc, v[17:18], v[19:20]
	s_and_saveexec_b64 s[56:57], vcc
	s_cbranch_execz .LBB69_33
; %bb.22:                               ;   in Loop: Header=BB69_16 Depth=2
	v_lshlrev_b64 v[21:22], 3, v[17:18]
	v_mov_b32_e32 v23, s41
	v_add_co_u32_e32 v21, vcc, s40, v21
	v_mov_b32_e32 v28, v18
	v_addc_co_u32_e32 v22, vcc, v23, v22, vcc
	s_mov_b64 s[60:61], 0
	v_mov_b32_e32 v27, v17
                                        ; implicit-def: $sgpr58_sgpr59
                                        ; implicit-def: $sgpr62_sgpr63
	s_branch .LBB69_24
.LBB69_23:                              ;   in Loop: Header=BB69_24 Depth=3
	s_or_b64 exec, exec, s[64:65]
	s_and_b64 s[22:23], exec, s[66:67]
	s_or_b64 s[60:61], s[22:23], s[60:61]
	s_andn2_b64 s[22:23], s[58:59], exec
	s_and_b64 s[58:59], s[62:63], exec
	s_or_b64 s[58:59], s[22:23], s[58:59]
	s_andn2_b64 exec, exec, s[60:61]
	s_cbranch_execz .LBB69_30
.LBB69_24:                              ;   Parent Loop BB69_7 Depth=1
                                        ;     Parent Loop BB69_16 Depth=2
                                        ; =>    This Inner Loop Header: Depth=3
	global_load_dwordx2 v[23:24], v[21:22], off
	v_mov_b32_e32 v25, v27
	v_mov_b32_e32 v26, v28
	s_waitcnt vmcnt(0)
	v_subrev_co_u32_e32 v23, vcc, s33, v23
	v_subbrev_co_u32_e32 v24, vcc, 0, v24, vcc
	v_cmp_lt_i64_e32 vcc, v[23:24], v[7:8]
	v_cmp_ge_i64_e64 s[22:23], v[23:24], v[9:10]
	s_or_b64 s[64:65], vcc, s[22:23]
	s_mov_b64 s[22:23], 0
	s_and_saveexec_b64 s[66:67], s[64:65]
	s_xor_b64 s[64:65], exec, s[66:67]
; %bb.25:                               ;   in Loop: Header=BB69_24 Depth=3
	v_cmp_lt_i64_e32 vcc, v[23:24], v[9:10]
	s_and_b64 s[22:23], vcc, exec
; %bb.26:                               ;   in Loop: Header=BB69_24 Depth=3
	s_andn2_saveexec_b64 s[64:65], s[64:65]
; %bb.27:                               ;   in Loop: Header=BB69_24 Depth=3
	v_sub_u32_e32 v27, v23, v7
	s_or_b64 s[22:23], s[22:23], exec
	ds_write_b8 v27, v37 offset:8192
; %bb.28:                               ;   in Loop: Header=BB69_24 Depth=3
	s_or_b64 exec, exec, s[64:65]
	s_mov_b64 s[66:67], -1
	s_or_b64 s[62:63], s[62:63], exec
                                        ; implicit-def: $vgpr27_vgpr28
	s_and_saveexec_b64 s[64:65], s[22:23]
	s_cbranch_execz .LBB69_23
; %bb.29:                               ;   in Loop: Header=BB69_24 Depth=3
	v_add_co_u32_e32 v27, vcc, 16, v25
	v_addc_co_u32_e32 v28, vcc, 0, v26, vcc
	v_add_co_u32_e32 v21, vcc, 0x80, v21
	v_addc_co_u32_e32 v22, vcc, 0, v22, vcc
	v_cmp_ge_i64_e32 vcc, v[27:28], v[19:20]
	s_andn2_b64 s[62:63], s[62:63], exec
	s_orn2_b64 s[66:67], vcc, exec
	s_branch .LBB69_23
.LBB69_30:                              ;   in Loop: Header=BB69_16 Depth=2
	s_or_b64 exec, exec, s[60:61]
	s_and_saveexec_b64 s[22:23], s[58:59]
	s_xor_b64 s[22:23], exec, s[22:23]
; %bb.31:                               ;   in Loop: Header=BB69_16 Depth=2
	v_cmp_lt_i64_e32 vcc, v[23:24], v[11:12]
	v_mov_b32_e32 v17, v25
	v_cndmask_b32_e32 v12, v12, v24, vcc
	v_cndmask_b32_e32 v11, v11, v23, vcc
	v_mov_b32_e32 v18, v26
; %bb.32:                               ;   in Loop: Header=BB69_16 Depth=2
	s_or_b64 exec, exec, s[22:23]
.LBB69_33:                              ;   in Loop: Header=BB69_16 Depth=2
	s_or_b64 exec, exec, s[56:57]
	v_mov_b32_dpp v19, v17 row_shr:1 row_mask:0xf bank_mask:0xf
	v_mov_b32_dpp v20, v18 row_shr:1 row_mask:0xf bank_mask:0xf
	v_cmp_lt_i64_e32 vcc, v[19:20], v[17:18]
	v_cndmask_b32_e32 v18, v18, v20, vcc
	v_cndmask_b32_e32 v17, v17, v19, vcc
	s_nop 0
	v_mov_b32_dpp v20, v18 row_shr:2 row_mask:0xf bank_mask:0xf
	v_mov_b32_dpp v19, v17 row_shr:2 row_mask:0xf bank_mask:0xf
	v_cmp_lt_i64_e32 vcc, v[19:20], v[17:18]
	v_cndmask_b32_e32 v18, v18, v20, vcc
	v_cndmask_b32_e32 v17, v17, v19, vcc
	s_nop 0
	;; [unrolled: 6-line block ×3, first 2 shown]
	v_mov_b32_dpp v21, v18 row_shr:8 row_mask:0xf bank_mask:0xc
	v_mov_b32_dpp v19, v17 row_shr:8 row_mask:0xf bank_mask:0xc
	s_and_saveexec_b64 s[22:23], s[2:3]
	s_cbranch_execz .LBB69_15
; %bb.34:                               ;   in Loop: Header=BB69_16 Depth=2
	v_mov_b32_e32 v20, v21
	v_cmp_lt_i64_e32 vcc, v[19:20], v[17:18]
	v_cndmask_b32_e32 v18, v18, v21, vcc
	v_cndmask_b32_e32 v17, v17, v19, vcc
	v_mov_b32_e32 v19, s31
	v_add_co_u32_e32 v15, vcc, s30, v15
	v_addc_co_u32_e32 v16, vcc, v19, v16, vcc
	global_store_dwordx2 v[15:16], v[17:18], off
	s_branch .LBB69_15
.LBB69_35:                              ;   in Loop: Header=BB69_7 Depth=1
	ds_write_b8 v0, v30 offset:8192
	s_or_b64 exec, exec, s[20:21]
	s_and_saveexec_b64 s[20:21], s[52:53]
	s_cbranch_execz .LBB69_9
.LBB69_36:                              ;   in Loop: Header=BB69_7 Depth=1
	ds_write_b8 v0, v30 offset:8704
	s_or_b64 exec, exec, s[20:21]
	s_and_saveexec_b64 s[20:21], s[52:53]
	s_cbranch_execz .LBB69_10
.LBB69_37:                              ;   in Loop: Header=BB69_7 Depth=1
	ds_write_b8 v0, v30 offset:9216
	s_or_b64 exec, exec, s[20:21]
	s_and_saveexec_b64 s[20:21], s[52:53]
	s_cbranch_execz .LBB69_11
.LBB69_38:                              ;   in Loop: Header=BB69_7 Depth=1
	ds_write_b8 v0, v30 offset:9728
	s_or_b64 exec, exec, s[20:21]
	s_and_saveexec_b64 s[20:21], s[0:1]
	s_cbranch_execnz .LBB69_12
	s_branch .LBB69_13
.LBB69_39:                              ;   in Loop: Header=BB69_7 Depth=1
	s_or_b64 exec, exec, s[54:55]
.LBB69_40:                              ;   in Loop: Header=BB69_7 Depth=1
	s_or_b64 exec, exec, s[46:47]
	s_andn2_b64 vcc, exec, s[50:51]
	s_cbranch_vccnz .LBB69_54
; %bb.41:                               ;   in Loop: Header=BB69_7 Depth=1
	s_load_dwordx4 s[20:23], s[26:27], 0x0
	s_waitcnt lgkmcnt(0)
	s_sub_u32 s46, s22, s45
	v_mov_b32_e32 v14, s21
	v_add_co_u32_e32 v13, vcc, s20, v31
	s_subb_u32 s47, s23, 0
	v_addc_co_u32_e32 v14, vcc, v14, v32, vcc
	v_cmp_gt_i64_e32 vcc, s[46:47], v[13:14]
	s_and_saveexec_b64 s[22:23], vcc
	s_cbranch_execz .LBB69_53
; %bb.42:                               ;   in Loop: Header=BB69_7 Depth=1
	v_lshlrev_b64 v[15:16], 3, v[13:14]
	v_mov_b32_e32 v17, s25
	v_add_co_u32_e32 v15, vcc, s24, v15
	v_addc_co_u32_e32 v16, vcc, v17, v16, vcc
	s_mov_b64 s[54:55], 0
                                        ; implicit-def: $sgpr56_sgpr57
                                        ; implicit-def: $sgpr58_sgpr59
	s_branch .LBB69_44
.LBB69_43:                              ;   in Loop: Header=BB69_44 Depth=2
	s_or_b64 exec, exec, s[60:61]
	s_and_b64 s[20:21], exec, s[62:63]
	s_or_b64 s[54:55], s[20:21], s[54:55]
	s_andn2_b64 s[20:21], s[56:57], exec
	s_and_b64 s[56:57], s[58:59], exec
	s_or_b64 s[56:57], s[20:21], s[56:57]
	s_andn2_b64 exec, exec, s[54:55]
	s_cbranch_execz .LBB69_50
.LBB69_44:                              ;   Parent Loop BB69_7 Depth=1
                                        ; =>  This Inner Loop Header: Depth=2
	global_load_dwordx2 v[17:18], v[15:16], off
	s_waitcnt vmcnt(0)
	v_subrev_co_u32_e32 v17, vcc, s45, v17
	v_subbrev_co_u32_e32 v18, vcc, 0, v18, vcc
	v_cmp_lt_i64_e32 vcc, v[17:18], v[7:8]
	v_cmp_ge_i64_e64 s[20:21], v[17:18], v[9:10]
	s_or_b64 s[60:61], vcc, s[20:21]
	s_mov_b64 s[20:21], 0
	s_and_saveexec_b64 s[62:63], s[60:61]
	s_xor_b64 s[60:61], exec, s[62:63]
; %bb.45:                               ;   in Loop: Header=BB69_44 Depth=2
	v_cmp_lt_i64_e32 vcc, v[17:18], v[9:10]
	s_and_b64 s[20:21], vcc, exec
; %bb.46:                               ;   in Loop: Header=BB69_44 Depth=2
	s_andn2_saveexec_b64 s[60:61], s[60:61]
; %bb.47:                               ;   in Loop: Header=BB69_44 Depth=2
	v_sub_u32_e32 v19, v17, v7
	s_or_b64 s[20:21], s[20:21], exec
	ds_write_b8 v19, v37 offset:8192
; %bb.48:                               ;   in Loop: Header=BB69_44 Depth=2
	s_or_b64 exec, exec, s[60:61]
	s_mov_b64 s[62:63], -1
	s_or_b64 s[58:59], s[58:59], exec
	s_and_saveexec_b64 s[60:61], s[20:21]
	s_cbranch_execz .LBB69_43
; %bb.49:                               ;   in Loop: Header=BB69_44 Depth=2
	v_add_co_u32_e32 v13, vcc, 0x200, v13
	v_addc_co_u32_e32 v14, vcc, 0, v14, vcc
	v_add_co_u32_e32 v15, vcc, 0x1000, v15
	v_addc_co_u32_e32 v16, vcc, 0, v16, vcc
	v_cmp_le_i64_e32 vcc, s[46:47], v[13:14]
	s_andn2_b64 s[58:59], s[58:59], exec
	s_orn2_b64 s[62:63], vcc, exec
	s_branch .LBB69_43
.LBB69_50:                              ;   in Loop: Header=BB69_7 Depth=1
	s_or_b64 exec, exec, s[54:55]
	s_and_saveexec_b64 s[20:21], s[56:57]
	s_xor_b64 s[20:21], exec, s[20:21]
; %bb.51:                               ;   in Loop: Header=BB69_7 Depth=1
	v_cmp_lt_i64_e32 vcc, v[17:18], v[11:12]
	v_cndmask_b32_e32 v12, v12, v18, vcc
	v_cndmask_b32_e32 v11, v11, v17, vcc
; %bb.52:                               ;   in Loop: Header=BB69_7 Depth=1
	s_or_b64 exec, exec, s[20:21]
.LBB69_53:                              ;   in Loop: Header=BB69_7 Depth=1
	s_or_b64 exec, exec, s[22:23]
.LBB69_54:                              ;   in Loop: Header=BB69_7 Depth=1
	v_mov_b32_dpp v9, v11 row_shr:1 row_mask:0xf bank_mask:0xf
	v_mov_b32_dpp v10, v12 row_shr:1 row_mask:0xf bank_mask:0xf
	v_cmp_lt_i64_e32 vcc, v[9:10], v[11:12]
	v_cndmask_b32_e32 v10, v12, v10, vcc
	v_cndmask_b32_e32 v9, v11, v9, vcc
	s_nop 0
	v_mov_b32_dpp v12, v10 row_shr:2 row_mask:0xf bank_mask:0xf
	v_mov_b32_dpp v11, v9 row_shr:2 row_mask:0xf bank_mask:0xf
	v_cmp_lt_i64_e32 vcc, v[11:12], v[9:10]
	v_cndmask_b32_e32 v10, v10, v12, vcc
	v_cndmask_b32_e32 v9, v9, v11, vcc
	s_nop 0
	;; [unrolled: 6-line block ×3, first 2 shown]
	v_mov_b32_dpp v13, v10 row_shr:8 row_mask:0xf bank_mask:0xc
	v_mov_b32_dpp v11, v9 row_shr:8 row_mask:0xf bank_mask:0xc
	s_and_saveexec_b64 s[20:21], s[2:3]
	s_cbranch_execz .LBB69_59
; %bb.55:                               ;   in Loop: Header=BB69_7 Depth=1
	v_mov_b32_e32 v12, v13
	v_cmp_lt_i64_e32 vcc, v[11:12], v[9:10]
	s_mov_b64 s[46:47], exec
	v_cndmask_b32_e32 v10, v10, v13, vcc
	v_cndmask_b32_e32 v9, v9, v11, vcc
	s_mov_b64 s[22:23], -1
.LBB69_56:                              ;   Parent Loop BB69_7 Depth=1
                                        ; =>  This Inner Loop Header: Depth=2
	s_ff1_i32_b64 s56, s[46:47]
	v_readlane_b32 s57, v10, s56
	v_readlane_b32 s58, v9, s56
	v_mov_b32_e32 v11, s58
	v_mov_b32_e32 v12, s57
	v_cmp_lt_u64_e32 vcc, s[22:23], v[11:12]
	s_and_b64 s[54:55], vcc, exec
	s_cselect_b32 s23, s23, s57
	s_cselect_b32 s22, s22, s58
	s_lshl_b64 s[54:55], 1, s56
	s_andn2_b64 s[46:47], s[46:47], s[54:55]
	s_cmp_lg_u64 s[46:47], 0
	s_cbranch_scc1 .LBB69_56
; %bb.57:                               ;   in Loop: Header=BB69_7 Depth=1
	v_mbcnt_lo_u32_b32 v9, exec_lo, 0
	v_mbcnt_hi_u32_b32 v9, exec_hi, v9
	v_cmp_eq_u32_e32 vcc, 0, v9
	s_and_saveexec_b64 s[46:47], vcc
	s_xor_b64 s[46:47], exec, s[46:47]
; %bb.58:                               ;   in Loop: Header=BB69_7 Depth=1
	v_mov_b32_e32 v9, s22
	v_mov_b32_e32 v10, s23
	ds_min_u64 v30, v[9:10] offset:10240
.LBB69_59:                              ;   in Loop: Header=BB69_7 Depth=1
	s_or_b64 exec, exec, s[20:21]
	v_add_co_u32_e32 v7, vcc, v34, v7
	v_addc_co_u32_e32 v8, vcc, v35, v8, vcc
	s_mov_b64 s[22:23], 0
	v_mov_b32_e32 v11, v36
	s_waitcnt vmcnt(0) lgkmcnt(0)
	s_barrier
	s_branch .LBB69_61
.LBB69_60:                              ;   in Loop: Header=BB69_61 Depth=2
	s_or_b64 exec, exec, s[20:21]
	s_waitcnt vmcnt(0) lgkmcnt(0)
	s_barrier
	ds_read_b32 v9, v30 offset:28
	v_add_u32_e32 v11, 0x200, v11
	v_cmp_lt_u32_e64 s[20:21], s68, v11
	s_or_b64 s[22:23], s[20:21], s[22:23]
	s_waitcnt lgkmcnt(0)
	v_ashrrev_i32_e32 v10, 31, v9
	v_add_co_u32_e32 v5, vcc, v5, v9
	v_addc_co_u32_e32 v6, vcc, v6, v10, vcc
	v_add_co_u32_e32 v7, vcc, 0x200, v7
	v_addc_co_u32_e32 v8, vcc, 0, v8, vcc
	s_andn2_b64 exec, exec, s[22:23]
	s_cbranch_execz .LBB69_6
.LBB69_61:                              ;   Parent Loop BB69_7 Depth=1
                                        ; =>  This Inner Loop Header: Depth=2
	ds_read_u8 v10, v11 offset:8704
	s_waitcnt lgkmcnt(0)
	s_barrier
	v_cmp_ne_u16_e32 vcc, 0, v10
	s_bcnt1_i32_b64 s20, vcc
	v_mov_b32_e32 v12, s20
	ds_write_b32 v33, v12
	s_waitcnt lgkmcnt(0)
	s_barrier
	ds_read_b128 v[12:15], v30
	v_and_b32_e32 v16, vcc_lo, v3
	v_and_b32_e32 v9, vcc_hi, v4
	v_bcnt_u32_b32 v16, v16, 0
	v_bcnt_u32_b32 v9, v9, v16
	ds_read_b96 v[16:18], v30 offset:16
	s_waitcnt lgkmcnt(1)
	v_cndmask_b32_e64 v12, v12, 0, s[6:7]
	v_add_u32_e32 v9, v12, v9
	v_cndmask_b32_e64 v12, v13, 0, s[8:9]
	v_cndmask_b32_e64 v13, v14, 0, s[10:11]
	v_add3_u32 v9, v9, v12, v13
	v_cndmask_b32_e64 v12, v15, 0, s[12:13]
	s_waitcnt lgkmcnt(0)
	v_cndmask_b32_e64 v13, v16, 0, s[14:15]
	v_add3_u32 v9, v9, v12, v13
	v_cndmask_b32_e64 v12, v17, 0, s[16:17]
	v_cndmask_b32_e64 v13, v18, 0, s[18:19]
	v_and_b32_e32 v10, 1, v10
	v_add3_u32 v9, v9, v12, v13
	v_cmp_eq_u32_e32 vcc, 1, v10
	s_and_saveexec_b64 s[20:21], vcc
	s_cbranch_execz .LBB69_63
; %bb.62:                               ;   in Loop: Header=BB69_61 Depth=2
	v_lshlrev_b64 v[12:13], 3, v[5:6]
	v_mov_b32_e32 v10, s29
	v_add_co_u32_e32 v14, vcc, s28, v12
	v_addc_co_u32_e32 v15, vcc, v10, v13, vcc
	v_ashrrev_i32_e32 v10, 31, v9
	v_lshlrev_b64 v[12:13], 3, v[9:10]
	v_add_co_u32_e32 v12, vcc, v14, v12
	v_addc_co_u32_e32 v13, vcc, v15, v13, vcc
	global_store_dwordx2 v[12:13], v[7:8], off offset:-8
.LBB69_63:                              ;   in Loop: Header=BB69_61 Depth=2
	s_or_b64 exec, exec, s[20:21]
	s_and_saveexec_b64 s[20:21], s[4:5]
	s_cbranch_execz .LBB69_60
; %bb.64:                               ;   in Loop: Header=BB69_61 Depth=2
	ds_write_b32 v30, v9 offset:28
	s_branch .LBB69_60
.LBB69_65:
	s_endpgm
	.section	.rodata,"a",@progbits
	.p2align	6, 0x0
	.amdhsa_kernel _ZN9rocsparseL45csrgemm_symbolic_fill_block_per_row_multipassILj512ELj16ELj2048ELj64EllEEvT4_PKS1_S3_PKT3_S3_S6_S3_S6_S3_S6_PS1_PS4_21rocsparse_index_base_S9_S9_S9_bb
		.amdhsa_group_segment_fixed_size 10248
		.amdhsa_private_segment_fixed_size 0
		.amdhsa_kernarg_size 116
		.amdhsa_user_sgpr_count 6
		.amdhsa_user_sgpr_private_segment_buffer 1
		.amdhsa_user_sgpr_dispatch_ptr 0
		.amdhsa_user_sgpr_queue_ptr 0
		.amdhsa_user_sgpr_kernarg_segment_ptr 1
		.amdhsa_user_sgpr_dispatch_id 0
		.amdhsa_user_sgpr_flat_scratch_init 0
		.amdhsa_user_sgpr_private_segment_size 0
		.amdhsa_uses_dynamic_stack 0
		.amdhsa_system_sgpr_private_segment_wavefront_offset 0
		.amdhsa_system_sgpr_workgroup_id_x 1
		.amdhsa_system_sgpr_workgroup_id_y 0
		.amdhsa_system_sgpr_workgroup_id_z 0
		.amdhsa_system_sgpr_workgroup_info 0
		.amdhsa_system_vgpr_workitem_id 0
		.amdhsa_next_free_vgpr 38
		.amdhsa_next_free_sgpr 69
		.amdhsa_reserve_vcc 1
		.amdhsa_reserve_flat_scratch 0
		.amdhsa_float_round_mode_32 0
		.amdhsa_float_round_mode_16_64 0
		.amdhsa_float_denorm_mode_32 3
		.amdhsa_float_denorm_mode_16_64 3
		.amdhsa_dx10_clamp 1
		.amdhsa_ieee_mode 1
		.amdhsa_fp16_overflow 0
		.amdhsa_exception_fp_ieee_invalid_op 0
		.amdhsa_exception_fp_denorm_src 0
		.amdhsa_exception_fp_ieee_div_zero 0
		.amdhsa_exception_fp_ieee_overflow 0
		.amdhsa_exception_fp_ieee_underflow 0
		.amdhsa_exception_fp_ieee_inexact 0
		.amdhsa_exception_int_div_zero 0
	.end_amdhsa_kernel
	.section	.text._ZN9rocsparseL45csrgemm_symbolic_fill_block_per_row_multipassILj512ELj16ELj2048ELj64EllEEvT4_PKS1_S3_PKT3_S3_S6_S3_S6_S3_S6_PS1_PS4_21rocsparse_index_base_S9_S9_S9_bb,"axG",@progbits,_ZN9rocsparseL45csrgemm_symbolic_fill_block_per_row_multipassILj512ELj16ELj2048ELj64EllEEvT4_PKS1_S3_PKT3_S3_S6_S3_S6_S3_S6_PS1_PS4_21rocsparse_index_base_S9_S9_S9_bb,comdat
.Lfunc_end69:
	.size	_ZN9rocsparseL45csrgemm_symbolic_fill_block_per_row_multipassILj512ELj16ELj2048ELj64EllEEvT4_PKS1_S3_PKT3_S3_S6_S3_S6_S3_S6_PS1_PS4_21rocsparse_index_base_S9_S9_S9_bb, .Lfunc_end69-_ZN9rocsparseL45csrgemm_symbolic_fill_block_per_row_multipassILj512ELj16ELj2048ELj64EllEEvT4_PKS1_S3_PKT3_S3_S6_S3_S6_S3_S6_PS1_PS4_21rocsparse_index_base_S9_S9_S9_bb
                                        ; -- End function
	.set _ZN9rocsparseL45csrgemm_symbolic_fill_block_per_row_multipassILj512ELj16ELj2048ELj64EllEEvT4_PKS1_S3_PKT3_S3_S6_S3_S6_S3_S6_PS1_PS4_21rocsparse_index_base_S9_S9_S9_bb.num_vgpr, 38
	.set _ZN9rocsparseL45csrgemm_symbolic_fill_block_per_row_multipassILj512ELj16ELj2048ELj64EllEEvT4_PKS1_S3_PKT3_S3_S6_S3_S6_S3_S6_PS1_PS4_21rocsparse_index_base_S9_S9_S9_bb.num_agpr, 0
	.set _ZN9rocsparseL45csrgemm_symbolic_fill_block_per_row_multipassILj512ELj16ELj2048ELj64EllEEvT4_PKS1_S3_PKT3_S3_S6_S3_S6_S3_S6_PS1_PS4_21rocsparse_index_base_S9_S9_S9_bb.numbered_sgpr, 69
	.set _ZN9rocsparseL45csrgemm_symbolic_fill_block_per_row_multipassILj512ELj16ELj2048ELj64EllEEvT4_PKS1_S3_PKT3_S3_S6_S3_S6_S3_S6_PS1_PS4_21rocsparse_index_base_S9_S9_S9_bb.num_named_barrier, 0
	.set _ZN9rocsparseL45csrgemm_symbolic_fill_block_per_row_multipassILj512ELj16ELj2048ELj64EllEEvT4_PKS1_S3_PKT3_S3_S6_S3_S6_S3_S6_PS1_PS4_21rocsparse_index_base_S9_S9_S9_bb.private_seg_size, 0
	.set _ZN9rocsparseL45csrgemm_symbolic_fill_block_per_row_multipassILj512ELj16ELj2048ELj64EllEEvT4_PKS1_S3_PKT3_S3_S6_S3_S6_S3_S6_PS1_PS4_21rocsparse_index_base_S9_S9_S9_bb.uses_vcc, 1
	.set _ZN9rocsparseL45csrgemm_symbolic_fill_block_per_row_multipassILj512ELj16ELj2048ELj64EllEEvT4_PKS1_S3_PKT3_S3_S6_S3_S6_S3_S6_PS1_PS4_21rocsparse_index_base_S9_S9_S9_bb.uses_flat_scratch, 0
	.set _ZN9rocsparseL45csrgemm_symbolic_fill_block_per_row_multipassILj512ELj16ELj2048ELj64EllEEvT4_PKS1_S3_PKT3_S3_S6_S3_S6_S3_S6_PS1_PS4_21rocsparse_index_base_S9_S9_S9_bb.has_dyn_sized_stack, 0
	.set _ZN9rocsparseL45csrgemm_symbolic_fill_block_per_row_multipassILj512ELj16ELj2048ELj64EllEEvT4_PKS1_S3_PKT3_S3_S6_S3_S6_S3_S6_PS1_PS4_21rocsparse_index_base_S9_S9_S9_bb.has_recursion, 0
	.set _ZN9rocsparseL45csrgemm_symbolic_fill_block_per_row_multipassILj512ELj16ELj2048ELj64EllEEvT4_PKS1_S3_PKT3_S3_S6_S3_S6_S3_S6_PS1_PS4_21rocsparse_index_base_S9_S9_S9_bb.has_indirect_call, 0
	.section	.AMDGPU.csdata,"",@progbits
; Kernel info:
; codeLenInByte = 2364
; TotalNumSgprs: 73
; NumVgprs: 38
; ScratchSize: 0
; MemoryBound: 0
; FloatMode: 240
; IeeeMode: 1
; LDSByteSize: 10248 bytes/workgroup (compile time only)
; SGPRBlocks: 9
; VGPRBlocks: 9
; NumSGPRsForWavesPerEU: 73
; NumVGPRsForWavesPerEU: 38
; Occupancy: 6
; WaveLimiterHint : 1
; COMPUTE_PGM_RSRC2:SCRATCH_EN: 0
; COMPUTE_PGM_RSRC2:USER_SGPR: 6
; COMPUTE_PGM_RSRC2:TRAP_HANDLER: 0
; COMPUTE_PGM_RSRC2:TGID_X_EN: 1
; COMPUTE_PGM_RSRC2:TGID_Y_EN: 0
; COMPUTE_PGM_RSRC2:TGID_Z_EN: 0
; COMPUTE_PGM_RSRC2:TIDIG_COMP_CNT: 0
	.section	.AMDGPU.gpr_maximums,"",@progbits
	.set amdgpu.max_num_vgpr, 0
	.set amdgpu.max_num_agpr, 0
	.set amdgpu.max_num_sgpr, 0
	.section	.AMDGPU.csdata,"",@progbits
	.type	__hip_cuid_3dfff6a36d3d38ca,@object ; @__hip_cuid_3dfff6a36d3d38ca
	.section	.bss,"aw",@nobits
	.globl	__hip_cuid_3dfff6a36d3d38ca
__hip_cuid_3dfff6a36d3d38ca:
	.byte	0                               ; 0x0
	.size	__hip_cuid_3dfff6a36d3d38ca, 1

	.ident	"AMD clang version 22.0.0git (https://github.com/RadeonOpenCompute/llvm-project roc-7.2.4 26084 f58b06dce1f9c15707c5f808fd002e18c2accf7e)"
	.section	".note.GNU-stack","",@progbits
	.addrsig
	.addrsig_sym _ZN9rocsparse13shared_memoryE
	.addrsig_sym __hip_cuid_3dfff6a36d3d38ca
	.amdgpu_metadata
---
amdhsa.kernels:
  - .args:
      - .offset:         0
        .size:           4
        .value_kind:     by_value
      - .actual_access:  read_only
        .address_space:  global
        .offset:         8
        .size:           8
        .value_kind:     global_buffer
      - .actual_access:  write_only
        .address_space:  global
        .offset:         16
        .size:           8
        .value_kind:     global_buffer
      - .offset:         24
        .size:           4
        .value_kind:     hidden_block_count_x
      - .offset:         28
        .size:           4
        .value_kind:     hidden_block_count_y
      - .offset:         32
        .size:           4
        .value_kind:     hidden_block_count_z
      - .offset:         36
        .size:           2
        .value_kind:     hidden_group_size_x
      - .offset:         38
        .size:           2
        .value_kind:     hidden_group_size_y
      - .offset:         40
        .size:           2
        .value_kind:     hidden_group_size_z
      - .offset:         42
        .size:           2
        .value_kind:     hidden_remainder_x
      - .offset:         44
        .size:           2
        .value_kind:     hidden_remainder_y
      - .offset:         46
        .size:           2
        .value_kind:     hidden_remainder_z
      - .offset:         64
        .size:           8
        .value_kind:     hidden_global_offset_x
      - .offset:         72
        .size:           8
        .value_kind:     hidden_global_offset_y
      - .offset:         80
        .size:           8
        .value_kind:     hidden_global_offset_z
      - .offset:         88
        .size:           2
        .value_kind:     hidden_grid_dims
    .group_segment_fixed_size: 1024
    .kernarg_segment_align: 8
    .kernarg_segment_size: 280
    .language:       OpenCL C
    .language_version:
      - 2
      - 0
    .max_flat_workgroup_size: 256
    .name:           _ZN9rocsparseL34csrgemm_symbolic_max_row_nnz_part1ILj256EiiEEvT1_PKT0_PS1_
    .private_segment_fixed_size: 0
    .sgpr_count:     15
    .sgpr_spill_count: 0
    .symbol:         _ZN9rocsparseL34csrgemm_symbolic_max_row_nnz_part1ILj256EiiEEvT1_PKT0_PS1_.kd
    .uniform_work_group_size: 1
    .uses_dynamic_stack: false
    .vgpr_count:     7
    .vgpr_spill_count: 0
    .wavefront_size: 64
  - .args:
      - .address_space:  global
        .offset:         0
        .size:           8
        .value_kind:     global_buffer
    .group_segment_fixed_size: 1024
    .kernarg_segment_align: 8
    .kernarg_segment_size: 8
    .language:       OpenCL C
    .language_version:
      - 2
      - 0
    .max_flat_workgroup_size: 256
    .name:           _ZN9rocsparseL34csrgemm_symbolic_max_row_nnz_part2ILj256EiEEvPT0_
    .private_segment_fixed_size: 0
    .sgpr_count:     10
    .sgpr_spill_count: 0
    .symbol:         _ZN9rocsparseL34csrgemm_symbolic_max_row_nnz_part2ILj256EiEEvPT0_.kd
    .uniform_work_group_size: 1
    .uses_dynamic_stack: false
    .vgpr_count:     4
    .vgpr_spill_count: 0
    .wavefront_size: 64
  - .args:
      - .offset:         0
        .size:           4
        .value_kind:     by_value
      - .actual_access:  read_only
        .address_space:  global
        .offset:         8
        .size:           8
        .value_kind:     global_buffer
      - .actual_access:  write_only
        .address_space:  global
        .offset:         16
        .size:           8
        .value_kind:     global_buffer
      - .actual_access:  write_only
        .address_space:  global
        .offset:         24
        .size:           8
        .value_kind:     global_buffer
      - .offset:         32
        .size:           4
        .value_kind:     by_value
      - .offset:         40
        .size:           4
        .value_kind:     hidden_block_count_x
      - .offset:         44
        .size:           4
        .value_kind:     hidden_block_count_y
      - .offset:         48
        .size:           4
        .value_kind:     hidden_block_count_z
      - .offset:         52
        .size:           2
        .value_kind:     hidden_group_size_x
      - .offset:         54
        .size:           2
        .value_kind:     hidden_group_size_y
      - .offset:         56
        .size:           2
        .value_kind:     hidden_group_size_z
      - .offset:         58
        .size:           2
        .value_kind:     hidden_remainder_x
      - .offset:         60
        .size:           2
        .value_kind:     hidden_remainder_y
      - .offset:         62
        .size:           2
        .value_kind:     hidden_remainder_z
      - .offset:         80
        .size:           8
        .value_kind:     hidden_global_offset_x
      - .offset:         88
        .size:           8
        .value_kind:     hidden_global_offset_y
      - .offset:         96
        .size:           8
        .value_kind:     hidden_global_offset_z
      - .offset:         104
        .size:           2
        .value_kind:     hidden_grid_dims
    .group_segment_fixed_size: 11264
    .kernarg_segment_align: 8
    .kernarg_segment_size: 296
    .language:       OpenCL C
    .language_version:
      - 2
      - 0
    .max_flat_workgroup_size: 256
    .name:           _ZN9rocsparseL35csrgemm_symbolic_group_reduce_part2ILj256ELj11EiiEEvT2_PKT1_PS1_Pij
    .private_segment_fixed_size: 0
    .sgpr_count:     56
    .sgpr_spill_count: 0
    .symbol:         _ZN9rocsparseL35csrgemm_symbolic_group_reduce_part2ILj256ELj11EiiEEvT2_PKT1_PS1_Pij.kd
    .uniform_work_group_size: 1
    .uses_dynamic_stack: false
    .vgpr_count:     22
    .vgpr_spill_count: 0
    .wavefront_size: 64
  - .args:
      - .address_space:  global
        .offset:         0
        .size:           8
        .value_kind:     global_buffer
    .group_segment_fixed_size: 11264
    .kernarg_segment_align: 8
    .kernarg_segment_size: 8
    .language:       OpenCL C
    .language_version:
      - 2
      - 0
    .max_flat_workgroup_size: 256
    .name:           _ZN9rocsparseL35csrgemm_symbolic_group_reduce_part3ILj256ELj11EiEEvPT1_
    .private_segment_fixed_size: 0
    .sgpr_count:     10
    .sgpr_spill_count: 0
    .symbol:         _ZN9rocsparseL35csrgemm_symbolic_group_reduce_part3ILj256ELj11EiEEvPT1_.kd
    .uniform_work_group_size: 1
    .uses_dynamic_stack: false
    .vgpr_count:     22
    .vgpr_spill_count: 0
    .wavefront_size: 64
  - .args:
      - .offset:         0
        .size:           4
        .value_kind:     by_value
      - .offset:         4
        .size:           4
        .value_kind:     by_value
      - .actual_access:  read_only
        .address_space:  global
        .offset:         8
        .size:           8
        .value_kind:     global_buffer
      - .actual_access:  read_only
        .address_space:  global
        .offset:         16
        .size:           8
        .value_kind:     global_buffer
      - .actual_access:  read_only
        .address_space:  global
        .offset:         24
        .size:           8
        .value_kind:     global_buffer
      - .actual_access:  read_only
        .address_space:  global
        .offset:         32
        .size:           8
        .value_kind:     global_buffer
      - .actual_access:  read_only
        .address_space:  global
        .offset:         40
        .size:           8
        .value_kind:     global_buffer
      - .actual_access:  read_only
        .address_space:  global
        .offset:         48
        .size:           8
        .value_kind:     global_buffer
      - .actual_access:  read_only
        .address_space:  global
        .offset:         56
        .size:           8
        .value_kind:     global_buffer
      - .actual_access:  read_only
        .address_space:  global
        .offset:         64
        .size:           8
        .value_kind:     global_buffer
      - .actual_access:  read_only
        .address_space:  global
        .offset:         72
        .size:           8
        .value_kind:     global_buffer
      - .actual_access:  write_only
        .address_space:  global
        .offset:         80
        .size:           8
        .value_kind:     global_buffer
      - .offset:         88
        .size:           4
        .value_kind:     by_value
      - .offset:         92
        .size:           4
        .value_kind:     by_value
      - .offset:         96
        .size:           4
        .value_kind:     by_value
      - .offset:         100
        .size:           4
        .value_kind:     by_value
      - .offset:         104
        .size:           1
        .value_kind:     by_value
      - .offset:         105
        .size:           1
        .value_kind:     by_value
    .group_segment_fixed_size: 2048
    .kernarg_segment_align: 8
    .kernarg_segment_size: 108
    .language:       OpenCL C
    .language_version:
      - 2
      - 0
    .max_flat_workgroup_size: 256
    .name:           _ZN9rocsparseL32csrgemm_symbolic_fill_wf_per_rowILj256ELj8ELj16ELj137EiiEEvT4_S1_PKS1_S3_PKT3_S3_S6_S3_S6_S3_S6_PS1_21rocsparse_index_base_S8_S8_S8_bb
    .private_segment_fixed_size: 0
    .sgpr_count:     44
    .sgpr_spill_count: 0
    .symbol:         _ZN9rocsparseL32csrgemm_symbolic_fill_wf_per_rowILj256ELj8ELj16ELj137EiiEEvT4_S1_PKS1_S3_PKT3_S3_S6_S3_S6_S3_S6_PS1_21rocsparse_index_base_S8_S8_S8_bb.kd
    .uniform_work_group_size: 1
    .uses_dynamic_stack: false
    .vgpr_count:     20
    .vgpr_spill_count: 0
    .wavefront_size: 64
  - .args:
      - .offset:         0
        .size:           4
        .value_kind:     by_value
      - .offset:         4
        .size:           4
        .value_kind:     by_value
      - .actual_access:  read_only
        .address_space:  global
        .offset:         8
        .size:           8
        .value_kind:     global_buffer
      - .actual_access:  read_only
        .address_space:  global
        .offset:         16
        .size:           8
        .value_kind:     global_buffer
      - .actual_access:  read_only
        .address_space:  global
        .offset:         24
        .size:           8
        .value_kind:     global_buffer
      - .actual_access:  read_only
        .address_space:  global
        .offset:         32
        .size:           8
        .value_kind:     global_buffer
      - .actual_access:  read_only
        .address_space:  global
        .offset:         40
        .size:           8
        .value_kind:     global_buffer
      - .actual_access:  read_only
        .address_space:  global
        .offset:         48
        .size:           8
        .value_kind:     global_buffer
      - .actual_access:  read_only
        .address_space:  global
        .offset:         56
        .size:           8
        .value_kind:     global_buffer
      - .actual_access:  read_only
        .address_space:  global
        .offset:         64
        .size:           8
        .value_kind:     global_buffer
      - .actual_access:  read_only
        .address_space:  global
        .offset:         72
        .size:           8
        .value_kind:     global_buffer
      - .actual_access:  write_only
        .address_space:  global
        .offset:         80
        .size:           8
        .value_kind:     global_buffer
      - .offset:         88
        .size:           4
        .value_kind:     by_value
      - .offset:         92
        .size:           4
        .value_kind:     by_value
      - .offset:         96
        .size:           4
        .value_kind:     by_value
      - .offset:         100
        .size:           4
        .value_kind:     by_value
      - .offset:         104
        .size:           1
        .value_kind:     by_value
      - .offset:         105
        .size:           1
        .value_kind:     by_value
    .group_segment_fixed_size: 2048
    .kernarg_segment_align: 8
    .kernarg_segment_size: 108
    .language:       OpenCL C
    .language_version:
      - 2
      - 0
    .max_flat_workgroup_size: 256
    .name:           _ZN9rocsparseL32csrgemm_symbolic_fill_wf_per_rowILj256ELj16ELj32ELj137EiiEEvT4_S1_PKS1_S3_PKT3_S3_S6_S3_S6_S3_S6_PS1_21rocsparse_index_base_S8_S8_S8_bb
    .private_segment_fixed_size: 0
    .sgpr_count:     44
    .sgpr_spill_count: 0
    .symbol:         _ZN9rocsparseL32csrgemm_symbolic_fill_wf_per_rowILj256ELj16ELj32ELj137EiiEEvT4_S1_PKS1_S3_PKT3_S3_S6_S3_S6_S3_S6_PS1_21rocsparse_index_base_S8_S8_S8_bb.kd
    .uniform_work_group_size: 1
    .uses_dynamic_stack: false
    .vgpr_count:     20
    .vgpr_spill_count: 0
    .wavefront_size: 64
  - .args:
      - .offset:         0
        .size:           4
        .value_kind:     by_value
      - .actual_access:  read_only
        .address_space:  global
        .offset:         8
        .size:           8
        .value_kind:     global_buffer
      - .actual_access:  read_only
        .address_space:  global
        .offset:         16
        .size:           8
        .value_kind:     global_buffer
      - .actual_access:  read_only
        .address_space:  global
        .offset:         24
        .size:           8
        .value_kind:     global_buffer
      - .actual_access:  read_only
        .address_space:  global
        .offset:         32
        .size:           8
        .value_kind:     global_buffer
      - .actual_access:  read_only
        .address_space:  global
        .offset:         40
        .size:           8
        .value_kind:     global_buffer
      - .actual_access:  read_only
        .address_space:  global
        .offset:         48
        .size:           8
        .value_kind:     global_buffer
      - .actual_access:  read_only
        .address_space:  global
        .offset:         56
        .size:           8
        .value_kind:     global_buffer
      - .actual_access:  read_only
        .address_space:  global
        .offset:         64
        .size:           8
        .value_kind:     global_buffer
      - .actual_access:  read_only
        .address_space:  global
        .offset:         72
        .size:           8
        .value_kind:     global_buffer
      - .actual_access:  write_only
        .address_space:  global
        .offset:         80
        .size:           8
        .value_kind:     global_buffer
      - .offset:         88
        .size:           4
        .value_kind:     by_value
      - .offset:         92
        .size:           4
        .value_kind:     by_value
      - .offset:         96
        .size:           4
        .value_kind:     by_value
      - .offset:         100
        .size:           4
        .value_kind:     by_value
      - .offset:         104
        .size:           1
        .value_kind:     by_value
      - .offset:         105
        .size:           1
        .value_kind:     by_value
    .group_segment_fixed_size: 0
    .kernarg_segment_align: 8
    .kernarg_segment_size: 108
    .language:       OpenCL C
    .language_version:
      - 2
      - 0
    .max_flat_workgroup_size: 128
    .name:           _ZN9rocsparseL35csrgemm_symbolic_fill_block_per_rowILj128ELj16ELj256ELj137ELj32EiiEEvT5_PKS1_S3_PKT4_S3_S6_S3_S6_S3_S6_PS1_21rocsparse_index_base_S8_S8_S8_bb
    .private_segment_fixed_size: 0
    .sgpr_count:     47
    .sgpr_spill_count: 0
    .symbol:         _ZN9rocsparseL35csrgemm_symbolic_fill_block_per_rowILj128ELj16ELj256ELj137ELj32EiiEEvT5_PKS1_S3_PKT4_S3_S6_S3_S6_S3_S6_PS1_21rocsparse_index_base_S8_S8_S8_bb.kd
    .uniform_work_group_size: 1
    .uses_dynamic_stack: false
    .vgpr_count:     12
    .vgpr_spill_count: 0
    .wavefront_size: 64
  - .args:
      - .offset:         0
        .size:           4
        .value_kind:     by_value
      - .actual_access:  read_only
        .address_space:  global
        .offset:         8
        .size:           8
        .value_kind:     global_buffer
      - .actual_access:  read_only
        .address_space:  global
        .offset:         16
        .size:           8
        .value_kind:     global_buffer
      - .actual_access:  read_only
        .address_space:  global
        .offset:         24
        .size:           8
        .value_kind:     global_buffer
      - .actual_access:  read_only
        .address_space:  global
        .offset:         32
        .size:           8
        .value_kind:     global_buffer
      - .actual_access:  read_only
        .address_space:  global
        .offset:         40
        .size:           8
        .value_kind:     global_buffer
      - .actual_access:  read_only
        .address_space:  global
        .offset:         48
        .size:           8
        .value_kind:     global_buffer
      - .actual_access:  read_only
        .address_space:  global
        .offset:         56
        .size:           8
        .value_kind:     global_buffer
      - .actual_access:  read_only
        .address_space:  global
        .offset:         64
        .size:           8
        .value_kind:     global_buffer
      - .actual_access:  read_only
        .address_space:  global
        .offset:         72
        .size:           8
        .value_kind:     global_buffer
      - .actual_access:  write_only
        .address_space:  global
        .offset:         80
        .size:           8
        .value_kind:     global_buffer
      - .offset:         88
        .size:           4
        .value_kind:     by_value
      - .offset:         92
        .size:           4
        .value_kind:     by_value
      - .offset:         96
        .size:           4
        .value_kind:     by_value
      - .offset:         100
        .size:           4
        .value_kind:     by_value
      - .offset:         104
        .size:           1
        .value_kind:     by_value
      - .offset:         105
        .size:           1
        .value_kind:     by_value
    .group_segment_fixed_size: 0
    .kernarg_segment_align: 8
    .kernarg_segment_size: 108
    .language:       OpenCL C
    .language_version:
      - 2
      - 0
    .max_flat_workgroup_size: 128
    .name:           _ZN9rocsparseL35csrgemm_symbolic_fill_block_per_rowILj128ELj16ELj256ELj137ELj64EiiEEvT5_PKS1_S3_PKT4_S3_S6_S3_S6_S3_S6_PS1_21rocsparse_index_base_S8_S8_S8_bb
    .private_segment_fixed_size: 0
    .sgpr_count:     47
    .sgpr_spill_count: 0
    .symbol:         _ZN9rocsparseL35csrgemm_symbolic_fill_block_per_rowILj128ELj16ELj256ELj137ELj64EiiEEvT5_PKS1_S3_PKT4_S3_S6_S3_S6_S3_S6_PS1_21rocsparse_index_base_S8_S8_S8_bb.kd
    .uniform_work_group_size: 1
    .uses_dynamic_stack: false
    .vgpr_count:     13
    .vgpr_spill_count: 0
    .wavefront_size: 64
  - .args:
      - .offset:         0
        .size:           4
        .value_kind:     by_value
      - .actual_access:  read_only
        .address_space:  global
        .offset:         8
        .size:           8
        .value_kind:     global_buffer
      - .actual_access:  read_only
        .address_space:  global
        .offset:         16
        .size:           8
        .value_kind:     global_buffer
      - .actual_access:  read_only
        .address_space:  global
        .offset:         24
        .size:           8
        .value_kind:     global_buffer
      - .actual_access:  read_only
        .address_space:  global
        .offset:         32
        .size:           8
        .value_kind:     global_buffer
      - .actual_access:  read_only
        .address_space:  global
        .offset:         40
        .size:           8
        .value_kind:     global_buffer
      - .actual_access:  read_only
        .address_space:  global
        .offset:         48
        .size:           8
        .value_kind:     global_buffer
      - .actual_access:  read_only
        .address_space:  global
        .offset:         56
        .size:           8
        .value_kind:     global_buffer
      - .actual_access:  read_only
        .address_space:  global
        .offset:         64
        .size:           8
        .value_kind:     global_buffer
      - .actual_access:  read_only
        .address_space:  global
        .offset:         72
        .size:           8
        .value_kind:     global_buffer
      - .actual_access:  write_only
        .address_space:  global
        .offset:         80
        .size:           8
        .value_kind:     global_buffer
      - .offset:         88
        .size:           4
        .value_kind:     by_value
      - .offset:         92
        .size:           4
        .value_kind:     by_value
      - .offset:         96
        .size:           4
        .value_kind:     by_value
      - .offset:         100
        .size:           4
        .value_kind:     by_value
      - .offset:         104
        .size:           1
        .value_kind:     by_value
      - .offset:         105
        .size:           1
        .value_kind:     by_value
    .group_segment_fixed_size: 0
    .kernarg_segment_align: 8
    .kernarg_segment_size: 108
    .language:       OpenCL C
    .language_version:
      - 2
      - 0
    .max_flat_workgroup_size: 256
    .name:           _ZN9rocsparseL35csrgemm_symbolic_fill_block_per_rowILj256ELj32ELj512ELj137ELj32EiiEEvT5_PKS1_S3_PKT4_S3_S6_S3_S6_S3_S6_PS1_21rocsparse_index_base_S8_S8_S8_bb
    .private_segment_fixed_size: 0
    .sgpr_count:     47
    .sgpr_spill_count: 0
    .symbol:         _ZN9rocsparseL35csrgemm_symbolic_fill_block_per_rowILj256ELj32ELj512ELj137ELj32EiiEEvT5_PKS1_S3_PKT4_S3_S6_S3_S6_S3_S6_PS1_21rocsparse_index_base_S8_S8_S8_bb.kd
    .uniform_work_group_size: 1
    .uses_dynamic_stack: false
    .vgpr_count:     13
    .vgpr_spill_count: 0
    .wavefront_size: 64
  - .args:
      - .offset:         0
        .size:           4
        .value_kind:     by_value
      - .actual_access:  read_only
        .address_space:  global
        .offset:         8
        .size:           8
        .value_kind:     global_buffer
      - .actual_access:  read_only
        .address_space:  global
        .offset:         16
        .size:           8
        .value_kind:     global_buffer
      - .actual_access:  read_only
        .address_space:  global
        .offset:         24
        .size:           8
        .value_kind:     global_buffer
      - .actual_access:  read_only
        .address_space:  global
        .offset:         32
        .size:           8
        .value_kind:     global_buffer
      - .actual_access:  read_only
        .address_space:  global
        .offset:         40
        .size:           8
        .value_kind:     global_buffer
      - .actual_access:  read_only
        .address_space:  global
        .offset:         48
        .size:           8
        .value_kind:     global_buffer
      - .actual_access:  read_only
        .address_space:  global
        .offset:         56
        .size:           8
        .value_kind:     global_buffer
      - .actual_access:  read_only
        .address_space:  global
        .offset:         64
        .size:           8
        .value_kind:     global_buffer
      - .actual_access:  read_only
        .address_space:  global
        .offset:         72
        .size:           8
        .value_kind:     global_buffer
      - .actual_access:  write_only
        .address_space:  global
        .offset:         80
        .size:           8
        .value_kind:     global_buffer
      - .offset:         88
        .size:           4
        .value_kind:     by_value
      - .offset:         92
        .size:           4
        .value_kind:     by_value
      - .offset:         96
        .size:           4
        .value_kind:     by_value
      - .offset:         100
        .size:           4
        .value_kind:     by_value
      - .offset:         104
        .size:           1
        .value_kind:     by_value
      - .offset:         105
        .size:           1
        .value_kind:     by_value
    .group_segment_fixed_size: 0
    .kernarg_segment_align: 8
    .kernarg_segment_size: 108
    .language:       OpenCL C
    .language_version:
      - 2
      - 0
    .max_flat_workgroup_size: 256
    .name:           _ZN9rocsparseL35csrgemm_symbolic_fill_block_per_rowILj256ELj32ELj512ELj137ELj64EiiEEvT5_PKS1_S3_PKT4_S3_S6_S3_S6_S3_S6_PS1_21rocsparse_index_base_S8_S8_S8_bb
    .private_segment_fixed_size: 0
    .sgpr_count:     47
    .sgpr_spill_count: 0
    .symbol:         _ZN9rocsparseL35csrgemm_symbolic_fill_block_per_rowILj256ELj32ELj512ELj137ELj64EiiEEvT5_PKS1_S3_PKT4_S3_S6_S3_S6_S3_S6_PS1_21rocsparse_index_base_S8_S8_S8_bb.kd
    .uniform_work_group_size: 1
    .uses_dynamic_stack: false
    .vgpr_count:     12
    .vgpr_spill_count: 0
    .wavefront_size: 64
  - .args:
      - .offset:         0
        .size:           4
        .value_kind:     by_value
      - .actual_access:  read_only
        .address_space:  global
        .offset:         8
        .size:           8
        .value_kind:     global_buffer
      - .actual_access:  read_only
        .address_space:  global
        .offset:         16
        .size:           8
        .value_kind:     global_buffer
      - .actual_access:  read_only
        .address_space:  global
        .offset:         24
        .size:           8
        .value_kind:     global_buffer
      - .actual_access:  read_only
        .address_space:  global
        .offset:         32
        .size:           8
        .value_kind:     global_buffer
      - .actual_access:  read_only
        .address_space:  global
        .offset:         40
        .size:           8
        .value_kind:     global_buffer
      - .actual_access:  read_only
        .address_space:  global
        .offset:         48
        .size:           8
        .value_kind:     global_buffer
      - .actual_access:  read_only
        .address_space:  global
        .offset:         56
        .size:           8
        .value_kind:     global_buffer
      - .actual_access:  read_only
        .address_space:  global
        .offset:         64
        .size:           8
        .value_kind:     global_buffer
      - .actual_access:  read_only
        .address_space:  global
        .offset:         72
        .size:           8
        .value_kind:     global_buffer
      - .actual_access:  write_only
        .address_space:  global
        .offset:         80
        .size:           8
        .value_kind:     global_buffer
      - .offset:         88
        .size:           4
        .value_kind:     by_value
      - .offset:         92
        .size:           4
        .value_kind:     by_value
      - .offset:         96
        .size:           4
        .value_kind:     by_value
      - .offset:         100
        .size:           4
        .value_kind:     by_value
      - .offset:         104
        .size:           1
        .value_kind:     by_value
      - .offset:         105
        .size:           1
        .value_kind:     by_value
    .group_segment_fixed_size: 0
    .kernarg_segment_align: 8
    .kernarg_segment_size: 108
    .language:       OpenCL C
    .language_version:
      - 2
      - 0
    .max_flat_workgroup_size: 512
    .name:           _ZN9rocsparseL35csrgemm_symbolic_fill_block_per_rowILj512ELj32ELj1024ELj137ELj32EiiEEvT5_PKS1_S3_PKT4_S3_S6_S3_S6_S3_S6_PS1_21rocsparse_index_base_S8_S8_S8_bb
    .private_segment_fixed_size: 0
    .sgpr_count:     50
    .sgpr_spill_count: 0
    .symbol:         _ZN9rocsparseL35csrgemm_symbolic_fill_block_per_rowILj512ELj32ELj1024ELj137ELj32EiiEEvT5_PKS1_S3_PKT4_S3_S6_S3_S6_S3_S6_PS1_21rocsparse_index_base_S8_S8_S8_bb.kd
    .uniform_work_group_size: 1
    .uses_dynamic_stack: false
    .vgpr_count:     14
    .vgpr_spill_count: 0
    .wavefront_size: 64
  - .args:
      - .offset:         0
        .size:           4
        .value_kind:     by_value
      - .actual_access:  read_only
        .address_space:  global
        .offset:         8
        .size:           8
        .value_kind:     global_buffer
      - .actual_access:  read_only
        .address_space:  global
        .offset:         16
        .size:           8
        .value_kind:     global_buffer
      - .actual_access:  read_only
        .address_space:  global
        .offset:         24
        .size:           8
        .value_kind:     global_buffer
      - .actual_access:  read_only
        .address_space:  global
        .offset:         32
        .size:           8
        .value_kind:     global_buffer
      - .actual_access:  read_only
        .address_space:  global
        .offset:         40
        .size:           8
        .value_kind:     global_buffer
      - .actual_access:  read_only
        .address_space:  global
        .offset:         48
        .size:           8
        .value_kind:     global_buffer
      - .actual_access:  read_only
        .address_space:  global
        .offset:         56
        .size:           8
        .value_kind:     global_buffer
      - .actual_access:  read_only
        .address_space:  global
        .offset:         64
        .size:           8
        .value_kind:     global_buffer
      - .actual_access:  read_only
        .address_space:  global
        .offset:         72
        .size:           8
        .value_kind:     global_buffer
      - .actual_access:  write_only
        .address_space:  global
        .offset:         80
        .size:           8
        .value_kind:     global_buffer
      - .offset:         88
        .size:           4
        .value_kind:     by_value
      - .offset:         92
        .size:           4
        .value_kind:     by_value
      - .offset:         96
        .size:           4
        .value_kind:     by_value
      - .offset:         100
        .size:           4
        .value_kind:     by_value
      - .offset:         104
        .size:           1
        .value_kind:     by_value
      - .offset:         105
        .size:           1
        .value_kind:     by_value
    .group_segment_fixed_size: 0
    .kernarg_segment_align: 8
    .kernarg_segment_size: 108
    .language:       OpenCL C
    .language_version:
      - 2
      - 0
    .max_flat_workgroup_size: 512
    .name:           _ZN9rocsparseL35csrgemm_symbolic_fill_block_per_rowILj512ELj32ELj1024ELj137ELj64EiiEEvT5_PKS1_S3_PKT4_S3_S6_S3_S6_S3_S6_PS1_21rocsparse_index_base_S8_S8_S8_bb
    .private_segment_fixed_size: 0
    .sgpr_count:     45
    .sgpr_spill_count: 0
    .symbol:         _ZN9rocsparseL35csrgemm_symbolic_fill_block_per_rowILj512ELj32ELj1024ELj137ELj64EiiEEvT5_PKS1_S3_PKT4_S3_S6_S3_S6_S3_S6_PS1_21rocsparse_index_base_S8_S8_S8_bb.kd
    .uniform_work_group_size: 1
    .uses_dynamic_stack: false
    .vgpr_count:     13
    .vgpr_spill_count: 0
    .wavefront_size: 64
  - .args:
      - .offset:         0
        .size:           4
        .value_kind:     by_value
      - .actual_access:  read_only
        .address_space:  global
        .offset:         8
        .size:           8
        .value_kind:     global_buffer
      - .actual_access:  read_only
        .address_space:  global
        .offset:         16
        .size:           8
        .value_kind:     global_buffer
      - .actual_access:  read_only
        .address_space:  global
        .offset:         24
        .size:           8
        .value_kind:     global_buffer
      - .actual_access:  read_only
        .address_space:  global
        .offset:         32
        .size:           8
        .value_kind:     global_buffer
      - .actual_access:  read_only
        .address_space:  global
        .offset:         40
        .size:           8
        .value_kind:     global_buffer
      - .actual_access:  read_only
        .address_space:  global
        .offset:         48
        .size:           8
        .value_kind:     global_buffer
      - .actual_access:  read_only
        .address_space:  global
        .offset:         56
        .size:           8
        .value_kind:     global_buffer
      - .actual_access:  read_only
        .address_space:  global
        .offset:         64
        .size:           8
        .value_kind:     global_buffer
      - .actual_access:  read_only
        .address_space:  global
        .offset:         72
        .size:           8
        .value_kind:     global_buffer
      - .actual_access:  write_only
        .address_space:  global
        .offset:         80
        .size:           8
        .value_kind:     global_buffer
      - .offset:         88
        .size:           4
        .value_kind:     by_value
      - .offset:         92
        .size:           4
        .value_kind:     by_value
      - .offset:         96
        .size:           4
        .value_kind:     by_value
      - .offset:         100
        .size:           4
        .value_kind:     by_value
      - .offset:         104
        .size:           1
        .value_kind:     by_value
      - .offset:         105
        .size:           1
        .value_kind:     by_value
    .group_segment_fixed_size: 0
    .kernarg_segment_align: 8
    .kernarg_segment_size: 108
    .language:       OpenCL C
    .language_version:
      - 2
      - 0
    .max_flat_workgroup_size: 1024
    .name:           _ZN9rocsparseL35csrgemm_symbolic_fill_block_per_rowILj1024ELj32ELj2048ELj137ELj32EiiEEvT5_PKS1_S3_PKT4_S3_S6_S3_S6_S3_S6_PS1_21rocsparse_index_base_S8_S8_S8_bb
    .private_segment_fixed_size: 0
    .sgpr_count:     82
    .sgpr_spill_count: 0
    .symbol:         _ZN9rocsparseL35csrgemm_symbolic_fill_block_per_rowILj1024ELj32ELj2048ELj137ELj32EiiEEvT5_PKS1_S3_PKT4_S3_S6_S3_S6_S3_S6_PS1_21rocsparse_index_base_S8_S8_S8_bb.kd
    .uniform_work_group_size: 1
    .uses_dynamic_stack: false
    .vgpr_count:     14
    .vgpr_spill_count: 0
    .wavefront_size: 64
  - .args:
      - .offset:         0
        .size:           4
        .value_kind:     by_value
      - .actual_access:  read_only
        .address_space:  global
        .offset:         8
        .size:           8
        .value_kind:     global_buffer
      - .actual_access:  read_only
        .address_space:  global
        .offset:         16
        .size:           8
        .value_kind:     global_buffer
      - .actual_access:  read_only
        .address_space:  global
        .offset:         24
        .size:           8
        .value_kind:     global_buffer
      - .actual_access:  read_only
        .address_space:  global
        .offset:         32
        .size:           8
        .value_kind:     global_buffer
      - .actual_access:  read_only
        .address_space:  global
        .offset:         40
        .size:           8
        .value_kind:     global_buffer
      - .actual_access:  read_only
        .address_space:  global
        .offset:         48
        .size:           8
        .value_kind:     global_buffer
      - .actual_access:  read_only
        .address_space:  global
        .offset:         56
        .size:           8
        .value_kind:     global_buffer
      - .actual_access:  read_only
        .address_space:  global
        .offset:         64
        .size:           8
        .value_kind:     global_buffer
      - .actual_access:  read_only
        .address_space:  global
        .offset:         72
        .size:           8
        .value_kind:     global_buffer
      - .actual_access:  write_only
        .address_space:  global
        .offset:         80
        .size:           8
        .value_kind:     global_buffer
      - .offset:         88
        .size:           4
        .value_kind:     by_value
      - .offset:         92
        .size:           4
        .value_kind:     by_value
      - .offset:         96
        .size:           4
        .value_kind:     by_value
      - .offset:         100
        .size:           4
        .value_kind:     by_value
      - .offset:         104
        .size:           1
        .value_kind:     by_value
      - .offset:         105
        .size:           1
        .value_kind:     by_value
    .group_segment_fixed_size: 0
    .kernarg_segment_align: 8
    .kernarg_segment_size: 108
    .language:       OpenCL C
    .language_version:
      - 2
      - 0
    .max_flat_workgroup_size: 1024
    .name:           _ZN9rocsparseL35csrgemm_symbolic_fill_block_per_rowILj1024ELj32ELj2048ELj137ELj64EiiEEvT5_PKS1_S3_PKT4_S3_S6_S3_S6_S3_S6_PS1_21rocsparse_index_base_S8_S8_S8_bb
    .private_segment_fixed_size: 0
    .sgpr_count:     50
    .sgpr_spill_count: 0
    .symbol:         _ZN9rocsparseL35csrgemm_symbolic_fill_block_per_rowILj1024ELj32ELj2048ELj137ELj64EiiEEvT5_PKS1_S3_PKT4_S3_S6_S3_S6_S3_S6_PS1_21rocsparse_index_base_S8_S8_S8_bb.kd
    .uniform_work_group_size: 1
    .uses_dynamic_stack: false
    .vgpr_count:     13
    .vgpr_spill_count: 0
    .wavefront_size: 64
  - .args:
      - .offset:         0
        .size:           4
        .value_kind:     by_value
      - .actual_access:  read_only
        .address_space:  global
        .offset:         8
        .size:           8
        .value_kind:     global_buffer
      - .actual_access:  read_only
        .address_space:  global
        .offset:         16
        .size:           8
        .value_kind:     global_buffer
      - .actual_access:  read_only
        .address_space:  global
        .offset:         24
        .size:           8
        .value_kind:     global_buffer
      - .actual_access:  read_only
        .address_space:  global
        .offset:         32
        .size:           8
        .value_kind:     global_buffer
      - .actual_access:  read_only
        .address_space:  global
        .offset:         40
        .size:           8
        .value_kind:     global_buffer
      - .actual_access:  read_only
        .address_space:  global
        .offset:         48
        .size:           8
        .value_kind:     global_buffer
      - .actual_access:  read_only
        .address_space:  global
        .offset:         56
        .size:           8
        .value_kind:     global_buffer
      - .actual_access:  read_only
        .address_space:  global
        .offset:         64
        .size:           8
        .value_kind:     global_buffer
      - .actual_access:  read_only
        .address_space:  global
        .offset:         72
        .size:           8
        .value_kind:     global_buffer
      - .actual_access:  write_only
        .address_space:  global
        .offset:         80
        .size:           8
        .value_kind:     global_buffer
      - .offset:         88
        .size:           4
        .value_kind:     by_value
      - .offset:         92
        .size:           4
        .value_kind:     by_value
      - .offset:         96
        .size:           4
        .value_kind:     by_value
      - .offset:         100
        .size:           4
        .value_kind:     by_value
      - .offset:         104
        .size:           1
        .value_kind:     by_value
      - .offset:         105
        .size:           1
        .value_kind:     by_value
    .group_segment_fixed_size: 0
    .kernarg_segment_align: 8
    .kernarg_segment_size: 108
    .language:       OpenCL C
    .language_version:
      - 2
      - 0
    .max_flat_workgroup_size: 1024
    .name:           _ZN9rocsparseL35csrgemm_symbolic_fill_block_per_rowILj1024ELj64ELj4096ELj137ELj32EiiEEvT5_PKS1_S3_PKT4_S3_S6_S3_S6_S3_S6_PS1_21rocsparse_index_base_S8_S8_S8_bb
    .private_segment_fixed_size: 0
    .sgpr_count:     82
    .sgpr_spill_count: 0
    .symbol:         _ZN9rocsparseL35csrgemm_symbolic_fill_block_per_rowILj1024ELj64ELj4096ELj137ELj32EiiEEvT5_PKS1_S3_PKT4_S3_S6_S3_S6_S3_S6_PS1_21rocsparse_index_base_S8_S8_S8_bb.kd
    .uniform_work_group_size: 1
    .uses_dynamic_stack: false
    .vgpr_count:     13
    .vgpr_spill_count: 0
    .wavefront_size: 64
  - .args:
      - .offset:         0
        .size:           4
        .value_kind:     by_value
      - .actual_access:  read_only
        .address_space:  global
        .offset:         8
        .size:           8
        .value_kind:     global_buffer
      - .actual_access:  read_only
        .address_space:  global
        .offset:         16
        .size:           8
        .value_kind:     global_buffer
      - .actual_access:  read_only
        .address_space:  global
        .offset:         24
        .size:           8
        .value_kind:     global_buffer
      - .actual_access:  read_only
        .address_space:  global
        .offset:         32
        .size:           8
        .value_kind:     global_buffer
      - .actual_access:  read_only
        .address_space:  global
        .offset:         40
        .size:           8
        .value_kind:     global_buffer
      - .actual_access:  read_only
        .address_space:  global
        .offset:         48
        .size:           8
        .value_kind:     global_buffer
      - .actual_access:  read_only
        .address_space:  global
        .offset:         56
        .size:           8
        .value_kind:     global_buffer
      - .actual_access:  read_only
        .address_space:  global
        .offset:         64
        .size:           8
        .value_kind:     global_buffer
      - .actual_access:  read_only
        .address_space:  global
        .offset:         72
        .size:           8
        .value_kind:     global_buffer
      - .actual_access:  write_only
        .address_space:  global
        .offset:         80
        .size:           8
        .value_kind:     global_buffer
      - .offset:         88
        .size:           4
        .value_kind:     by_value
      - .offset:         92
        .size:           4
        .value_kind:     by_value
      - .offset:         96
        .size:           4
        .value_kind:     by_value
      - .offset:         100
        .size:           4
        .value_kind:     by_value
      - .offset:         104
        .size:           1
        .value_kind:     by_value
      - .offset:         105
        .size:           1
        .value_kind:     by_value
    .group_segment_fixed_size: 0
    .kernarg_segment_align: 8
    .kernarg_segment_size: 108
    .language:       OpenCL C
    .language_version:
      - 2
      - 0
    .max_flat_workgroup_size: 1024
    .name:           _ZN9rocsparseL35csrgemm_symbolic_fill_block_per_rowILj1024ELj64ELj4096ELj137ELj64EiiEEvT5_PKS1_S3_PKT4_S3_S6_S3_S6_S3_S6_PS1_21rocsparse_index_base_S8_S8_S8_bb
    .private_segment_fixed_size: 0
    .sgpr_count:     50
    .sgpr_spill_count: 0
    .symbol:         _ZN9rocsparseL35csrgemm_symbolic_fill_block_per_rowILj1024ELj64ELj4096ELj137ELj64EiiEEvT5_PKS1_S3_PKT4_S3_S6_S3_S6_S3_S6_PS1_21rocsparse_index_base_S8_S8_S8_bb.kd
    .uniform_work_group_size: 1
    .uses_dynamic_stack: false
    .vgpr_count:     14
    .vgpr_spill_count: 0
    .wavefront_size: 64
  - .args:
      - .offset:         0
        .size:           4
        .value_kind:     by_value
      - .actual_access:  read_only
        .address_space:  global
        .offset:         8
        .size:           8
        .value_kind:     global_buffer
      - .actual_access:  read_only
        .address_space:  global
        .offset:         16
        .size:           8
        .value_kind:     global_buffer
      - .actual_access:  read_only
        .address_space:  global
        .offset:         24
        .size:           8
        .value_kind:     global_buffer
      - .actual_access:  read_only
        .address_space:  global
        .offset:         32
        .size:           8
        .value_kind:     global_buffer
      - .actual_access:  read_only
        .address_space:  global
        .offset:         40
        .size:           8
        .value_kind:     global_buffer
      - .actual_access:  read_only
        .address_space:  global
        .offset:         48
        .size:           8
        .value_kind:     global_buffer
      - .actual_access:  read_only
        .address_space:  global
        .offset:         56
        .size:           8
        .value_kind:     global_buffer
      - .actual_access:  read_only
        .address_space:  global
        .offset:         64
        .size:           8
        .value_kind:     global_buffer
      - .actual_access:  read_only
        .address_space:  global
        .offset:         72
        .size:           8
        .value_kind:     global_buffer
      - .actual_access:  write_only
        .address_space:  global
        .offset:         80
        .size:           8
        .value_kind:     global_buffer
      - .offset:         88
        .size:           4
        .value_kind:     by_value
      - .offset:         92
        .size:           4
        .value_kind:     by_value
      - .offset:         96
        .size:           4
        .value_kind:     by_value
      - .offset:         100
        .size:           4
        .value_kind:     by_value
      - .offset:         104
        .size:           1
        .value_kind:     by_value
      - .offset:         105
        .size:           1
        .value_kind:     by_value
    .group_segment_fixed_size: 0
    .kernarg_segment_align: 8
    .kernarg_segment_size: 108
    .language:       OpenCL C
    .language_version:
      - 2
      - 0
    .max_flat_workgroup_size: 1024
    .name:           _ZN9rocsparseL35csrgemm_symbolic_fill_block_per_rowILj1024ELj64ELj8192ELj137ELj32EiiEEvT5_PKS1_S3_PKT4_S3_S6_S3_S6_S3_S6_PS1_21rocsparse_index_base_S8_S8_S8_bb
    .private_segment_fixed_size: 0
    .sgpr_count:     82
    .sgpr_spill_count: 0
    .symbol:         _ZN9rocsparseL35csrgemm_symbolic_fill_block_per_rowILj1024ELj64ELj8192ELj137ELj32EiiEEvT5_PKS1_S3_PKT4_S3_S6_S3_S6_S3_S6_PS1_21rocsparse_index_base_S8_S8_S8_bb.kd
    .uniform_work_group_size: 1
    .uses_dynamic_stack: false
    .vgpr_count:     12
    .vgpr_spill_count: 0
    .wavefront_size: 64
  - .args:
      - .offset:         0
        .size:           4
        .value_kind:     by_value
      - .actual_access:  read_only
        .address_space:  global
        .offset:         8
        .size:           8
        .value_kind:     global_buffer
      - .actual_access:  read_only
        .address_space:  global
        .offset:         16
        .size:           8
        .value_kind:     global_buffer
      - .actual_access:  read_only
        .address_space:  global
        .offset:         24
        .size:           8
        .value_kind:     global_buffer
      - .actual_access:  read_only
        .address_space:  global
        .offset:         32
        .size:           8
        .value_kind:     global_buffer
      - .actual_access:  read_only
        .address_space:  global
        .offset:         40
        .size:           8
        .value_kind:     global_buffer
      - .actual_access:  read_only
        .address_space:  global
        .offset:         48
        .size:           8
        .value_kind:     global_buffer
      - .actual_access:  read_only
        .address_space:  global
        .offset:         56
        .size:           8
        .value_kind:     global_buffer
      - .actual_access:  read_only
        .address_space:  global
        .offset:         64
        .size:           8
        .value_kind:     global_buffer
      - .actual_access:  read_only
        .address_space:  global
        .offset:         72
        .size:           8
        .value_kind:     global_buffer
      - .actual_access:  write_only
        .address_space:  global
        .offset:         80
        .size:           8
        .value_kind:     global_buffer
      - .offset:         88
        .size:           4
        .value_kind:     by_value
      - .offset:         92
        .size:           4
        .value_kind:     by_value
      - .offset:         96
        .size:           4
        .value_kind:     by_value
      - .offset:         100
        .size:           4
        .value_kind:     by_value
      - .offset:         104
        .size:           1
        .value_kind:     by_value
      - .offset:         105
        .size:           1
        .value_kind:     by_value
    .group_segment_fixed_size: 0
    .kernarg_segment_align: 8
    .kernarg_segment_size: 108
    .language:       OpenCL C
    .language_version:
      - 2
      - 0
    .max_flat_workgroup_size: 1024
    .name:           _ZN9rocsparseL35csrgemm_symbolic_fill_block_per_rowILj1024ELj64ELj8192ELj137ELj64EiiEEvT5_PKS1_S3_PKT4_S3_S6_S3_S6_S3_S6_PS1_21rocsparse_index_base_S8_S8_S8_bb
    .private_segment_fixed_size: 0
    .sgpr_count:     50
    .sgpr_spill_count: 0
    .symbol:         _ZN9rocsparseL35csrgemm_symbolic_fill_block_per_rowILj1024ELj64ELj8192ELj137ELj64EiiEEvT5_PKS1_S3_PKT4_S3_S6_S3_S6_S3_S6_PS1_21rocsparse_index_base_S8_S8_S8_bb.kd
    .uniform_work_group_size: 1
    .uses_dynamic_stack: false
    .vgpr_count:     13
    .vgpr_spill_count: 0
    .wavefront_size: 64
  - .args:
      - .offset:         0
        .size:           4
        .value_kind:     by_value
      - .actual_access:  read_only
        .address_space:  global
        .offset:         8
        .size:           8
        .value_kind:     global_buffer
      - .actual_access:  read_only
        .address_space:  global
        .offset:         16
        .size:           8
        .value_kind:     global_buffer
      - .actual_access:  read_only
        .address_space:  global
        .offset:         24
        .size:           8
        .value_kind:     global_buffer
      - .actual_access:  read_only
        .address_space:  global
        .offset:         32
        .size:           8
        .value_kind:     global_buffer
      - .actual_access:  read_only
        .address_space:  global
        .offset:         40
        .size:           8
        .value_kind:     global_buffer
      - .actual_access:  read_only
        .address_space:  global
        .offset:         48
        .size:           8
        .value_kind:     global_buffer
      - .actual_access:  read_only
        .address_space:  global
        .offset:         56
        .size:           8
        .value_kind:     global_buffer
      - .actual_access:  read_only
        .address_space:  global
        .offset:         64
        .size:           8
        .value_kind:     global_buffer
      - .actual_access:  read_only
        .address_space:  global
        .offset:         72
        .size:           8
        .value_kind:     global_buffer
      - .actual_access:  write_only
        .address_space:  global
        .offset:         80
        .size:           8
        .value_kind:     global_buffer
      - .offset:         88
        .size:           4
        .value_kind:     by_value
      - .offset:         92
        .size:           4
        .value_kind:     by_value
      - .offset:         96
        .size:           4
        .value_kind:     by_value
      - .offset:         100
        .size:           4
        .value_kind:     by_value
      - .offset:         104
        .size:           1
        .value_kind:     by_value
      - .offset:         105
        .size:           1
        .value_kind:     by_value
    .group_segment_fixed_size: 0
    .kernarg_segment_align: 8
    .kernarg_segment_size: 108
    .language:       OpenCL C
    .language_version:
      - 2
      - 0
    .max_flat_workgroup_size: 1024
    .name:           _ZN9rocsparseL35csrgemm_symbolic_fill_block_per_rowILj1024ELj64ELj16384ELj137ELj32EiiEEvT5_PKS1_S3_PKT4_S3_S6_S3_S6_S3_S6_PS1_21rocsparse_index_base_S8_S8_S8_bb
    .private_segment_fixed_size: 0
    .sgpr_count:     100
    .sgpr_spill_count: 19
    .symbol:         _ZN9rocsparseL35csrgemm_symbolic_fill_block_per_rowILj1024ELj64ELj16384ELj137ELj32EiiEEvT5_PKS1_S3_PKT4_S3_S6_S3_S6_S3_S6_PS1_21rocsparse_index_base_S8_S8_S8_bb.kd
    .uniform_work_group_size: 1
    .uses_dynamic_stack: false
    .vgpr_count:     14
    .vgpr_spill_count: 0
    .wavefront_size: 64
  - .args:
      - .offset:         0
        .size:           4
        .value_kind:     by_value
      - .actual_access:  read_only
        .address_space:  global
        .offset:         8
        .size:           8
        .value_kind:     global_buffer
      - .actual_access:  read_only
        .address_space:  global
        .offset:         16
        .size:           8
        .value_kind:     global_buffer
      - .actual_access:  read_only
        .address_space:  global
        .offset:         24
        .size:           8
        .value_kind:     global_buffer
      - .actual_access:  read_only
        .address_space:  global
        .offset:         32
        .size:           8
        .value_kind:     global_buffer
      - .actual_access:  read_only
        .address_space:  global
        .offset:         40
        .size:           8
        .value_kind:     global_buffer
      - .actual_access:  read_only
        .address_space:  global
        .offset:         48
        .size:           8
        .value_kind:     global_buffer
      - .actual_access:  read_only
        .address_space:  global
        .offset:         56
        .size:           8
        .value_kind:     global_buffer
      - .actual_access:  read_only
        .address_space:  global
        .offset:         64
        .size:           8
        .value_kind:     global_buffer
      - .actual_access:  read_only
        .address_space:  global
        .offset:         72
        .size:           8
        .value_kind:     global_buffer
      - .actual_access:  write_only
        .address_space:  global
        .offset:         80
        .size:           8
        .value_kind:     global_buffer
      - .offset:         88
        .size:           4
        .value_kind:     by_value
      - .offset:         92
        .size:           4
        .value_kind:     by_value
      - .offset:         96
        .size:           4
        .value_kind:     by_value
      - .offset:         100
        .size:           4
        .value_kind:     by_value
      - .offset:         104
        .size:           1
        .value_kind:     by_value
      - .offset:         105
        .size:           1
        .value_kind:     by_value
    .group_segment_fixed_size: 0
    .kernarg_segment_align: 8
    .kernarg_segment_size: 108
    .language:       OpenCL C
    .language_version:
      - 2
      - 0
    .max_flat_workgroup_size: 1024
    .name:           _ZN9rocsparseL35csrgemm_symbolic_fill_block_per_rowILj1024ELj64ELj16384ELj137ELj64EiiEEvT5_PKS1_S3_PKT4_S3_S6_S3_S6_S3_S6_PS1_21rocsparse_index_base_S8_S8_S8_bb
    .private_segment_fixed_size: 0
    .sgpr_count:     65
    .sgpr_spill_count: 0
    .symbol:         _ZN9rocsparseL35csrgemm_symbolic_fill_block_per_rowILj1024ELj64ELj16384ELj137ELj64EiiEEvT5_PKS1_S3_PKT4_S3_S6_S3_S6_S3_S6_PS1_21rocsparse_index_base_S8_S8_S8_bb.kd
    .uniform_work_group_size: 1
    .uses_dynamic_stack: false
    .vgpr_count:     14
    .vgpr_spill_count: 0
    .wavefront_size: 64
  - .args:
      - .offset:         0
        .size:           4
        .value_kind:     by_value
      - .actual_access:  read_only
        .address_space:  global
        .offset:         8
        .size:           8
        .value_kind:     global_buffer
      - .actual_access:  read_only
        .address_space:  global
        .offset:         16
        .size:           8
        .value_kind:     global_buffer
      - .actual_access:  read_only
        .address_space:  global
        .offset:         24
        .size:           8
        .value_kind:     global_buffer
      - .actual_access:  read_only
        .address_space:  global
        .offset:         32
        .size:           8
        .value_kind:     global_buffer
      - .actual_access:  read_only
        .address_space:  global
        .offset:         40
        .size:           8
        .value_kind:     global_buffer
      - .actual_access:  read_only
        .address_space:  global
        .offset:         48
        .size:           8
        .value_kind:     global_buffer
      - .actual_access:  read_only
        .address_space:  global
        .offset:         56
        .size:           8
        .value_kind:     global_buffer
      - .actual_access:  read_only
        .address_space:  global
        .offset:         64
        .size:           8
        .value_kind:     global_buffer
      - .actual_access:  read_only
        .address_space:  global
        .offset:         72
        .size:           8
        .value_kind:     global_buffer
      - .actual_access:  write_only
        .address_space:  global
        .offset:         80
        .size:           8
        .value_kind:     global_buffer
      - .offset:         88
        .size:           4
        .value_kind:     by_value
      - .offset:         92
        .size:           4
        .value_kind:     by_value
      - .offset:         96
        .size:           4
        .value_kind:     by_value
      - .offset:         100
        .size:           4
        .value_kind:     by_value
      - .offset:         104
        .size:           1
        .value_kind:     by_value
      - .offset:         105
        .size:           1
        .value_kind:     by_value
    .group_segment_fixed_size: 0
    .kernarg_segment_align: 8
    .kernarg_segment_size: 108
    .language:       OpenCL C
    .language_version:
      - 2
      - 0
    .max_flat_workgroup_size: 1024
    .name:           _ZN9rocsparseL35csrgemm_symbolic_fill_block_per_rowILj1024ELj64ELj32768ELj137ELj32EiiEEvT5_PKS1_S3_PKT4_S3_S6_S3_S6_S3_S6_PS1_21rocsparse_index_base_S8_S8_S8_bb
    .private_segment_fixed_size: 0
    .sgpr_count:     100
    .sgpr_spill_count: 19
    .symbol:         _ZN9rocsparseL35csrgemm_symbolic_fill_block_per_rowILj1024ELj64ELj32768ELj137ELj32EiiEEvT5_PKS1_S3_PKT4_S3_S6_S3_S6_S3_S6_PS1_21rocsparse_index_base_S8_S8_S8_bb.kd
    .uniform_work_group_size: 1
    .uses_dynamic_stack: false
    .vgpr_count:     14
    .vgpr_spill_count: 0
    .wavefront_size: 64
  - .args:
      - .offset:         0
        .size:           4
        .value_kind:     by_value
      - .actual_access:  read_only
        .address_space:  global
        .offset:         8
        .size:           8
        .value_kind:     global_buffer
      - .actual_access:  read_only
        .address_space:  global
        .offset:         16
        .size:           8
        .value_kind:     global_buffer
      - .actual_access:  read_only
        .address_space:  global
        .offset:         24
        .size:           8
        .value_kind:     global_buffer
      - .actual_access:  read_only
        .address_space:  global
        .offset:         32
        .size:           8
        .value_kind:     global_buffer
      - .actual_access:  read_only
        .address_space:  global
        .offset:         40
        .size:           8
        .value_kind:     global_buffer
      - .actual_access:  read_only
        .address_space:  global
        .offset:         48
        .size:           8
        .value_kind:     global_buffer
      - .actual_access:  read_only
        .address_space:  global
        .offset:         56
        .size:           8
        .value_kind:     global_buffer
      - .actual_access:  read_only
        .address_space:  global
        .offset:         64
        .size:           8
        .value_kind:     global_buffer
      - .actual_access:  read_only
        .address_space:  global
        .offset:         72
        .size:           8
        .value_kind:     global_buffer
      - .actual_access:  write_only
        .address_space:  global
        .offset:         80
        .size:           8
        .value_kind:     global_buffer
      - .offset:         88
        .size:           4
        .value_kind:     by_value
      - .offset:         92
        .size:           4
        .value_kind:     by_value
      - .offset:         96
        .size:           4
        .value_kind:     by_value
      - .offset:         100
        .size:           4
        .value_kind:     by_value
      - .offset:         104
        .size:           1
        .value_kind:     by_value
      - .offset:         105
        .size:           1
        .value_kind:     by_value
    .group_segment_fixed_size: 0
    .kernarg_segment_align: 8
    .kernarg_segment_size: 108
    .language:       OpenCL C
    .language_version:
      - 2
      - 0
    .max_flat_workgroup_size: 1024
    .name:           _ZN9rocsparseL35csrgemm_symbolic_fill_block_per_rowILj1024ELj64ELj32768ELj137ELj64EiiEEvT5_PKS1_S3_PKT4_S3_S6_S3_S6_S3_S6_PS1_21rocsparse_index_base_S8_S8_S8_bb
    .private_segment_fixed_size: 0
    .sgpr_count:     65
    .sgpr_spill_count: 0
    .symbol:         _ZN9rocsparseL35csrgemm_symbolic_fill_block_per_rowILj1024ELj64ELj32768ELj137ELj64EiiEEvT5_PKS1_S3_PKT4_S3_S6_S3_S6_S3_S6_PS1_21rocsparse_index_base_S8_S8_S8_bb.kd
    .uniform_work_group_size: 1
    .uses_dynamic_stack: false
    .vgpr_count:     14
    .vgpr_spill_count: 0
    .wavefront_size: 64
  - .args:
      - .offset:         0
        .size:           4
        .value_kind:     by_value
      - .actual_access:  read_only
        .address_space:  global
        .offset:         8
        .size:           8
        .value_kind:     global_buffer
      - .actual_access:  read_only
        .address_space:  global
        .offset:         16
        .size:           8
        .value_kind:     global_buffer
      - .actual_access:  read_only
        .address_space:  global
        .offset:         24
        .size:           8
        .value_kind:     global_buffer
      - .actual_access:  read_only
        .address_space:  global
        .offset:         32
        .size:           8
        .value_kind:     global_buffer
      - .actual_access:  read_only
        .address_space:  global
        .offset:         40
        .size:           8
        .value_kind:     global_buffer
      - .actual_access:  read_only
        .address_space:  global
        .offset:         48
        .size:           8
        .value_kind:     global_buffer
      - .actual_access:  read_only
        .address_space:  global
        .offset:         56
        .size:           8
        .value_kind:     global_buffer
      - .actual_access:  read_only
        .address_space:  global
        .offset:         64
        .size:           8
        .value_kind:     global_buffer
      - .actual_access:  read_only
        .address_space:  global
        .offset:         72
        .size:           8
        .value_kind:     global_buffer
      - .actual_access:  write_only
        .address_space:  global
        .offset:         80
        .size:           8
        .value_kind:     global_buffer
      - .address_space:  global
        .offset:         88
        .size:           8
        .value_kind:     global_buffer
      - .offset:         96
        .size:           4
        .value_kind:     by_value
      - .offset:         100
        .size:           4
        .value_kind:     by_value
      - .offset:         104
        .size:           4
        .value_kind:     by_value
      - .offset:         108
        .size:           4
        .value_kind:     by_value
      - .offset:         112
        .size:           1
        .value_kind:     by_value
      - .offset:         113
        .size:           1
        .value_kind:     by_value
    .group_segment_fixed_size: 10244
    .kernarg_segment_align: 8
    .kernarg_segment_size: 116
    .language:       OpenCL C
    .language_version:
      - 2
      - 0
    .max_flat_workgroup_size: 512
    .name:           _ZN9rocsparseL45csrgemm_symbolic_fill_block_per_row_multipassILj512ELj16ELj2048ELj32EiiEEvT4_PKS1_S3_PKT3_S3_S6_S3_S6_S3_S6_PS1_PS4_21rocsparse_index_base_S9_S9_S9_bb
    .private_segment_fixed_size: 0
    .sgpr_count:     88
    .sgpr_spill_count: 0
    .symbol:         _ZN9rocsparseL45csrgemm_symbolic_fill_block_per_row_multipassILj512ELj16ELj2048ELj32EiiEEvT4_PKS1_S3_PKT3_S3_S6_S3_S6_S3_S6_PS1_PS4_21rocsparse_index_base_S9_S9_S9_bb.kd
    .uniform_work_group_size: 1
    .uses_dynamic_stack: false
    .vgpr_count:     24
    .vgpr_spill_count: 0
    .wavefront_size: 64
  - .args:
      - .offset:         0
        .size:           4
        .value_kind:     by_value
      - .actual_access:  read_only
        .address_space:  global
        .offset:         8
        .size:           8
        .value_kind:     global_buffer
      - .actual_access:  read_only
        .address_space:  global
        .offset:         16
        .size:           8
        .value_kind:     global_buffer
      - .actual_access:  read_only
        .address_space:  global
        .offset:         24
        .size:           8
        .value_kind:     global_buffer
      - .actual_access:  read_only
        .address_space:  global
        .offset:         32
        .size:           8
        .value_kind:     global_buffer
      - .actual_access:  read_only
        .address_space:  global
        .offset:         40
        .size:           8
        .value_kind:     global_buffer
      - .actual_access:  read_only
        .address_space:  global
        .offset:         48
        .size:           8
        .value_kind:     global_buffer
      - .actual_access:  read_only
        .address_space:  global
        .offset:         56
        .size:           8
        .value_kind:     global_buffer
      - .actual_access:  read_only
        .address_space:  global
        .offset:         64
        .size:           8
        .value_kind:     global_buffer
      - .actual_access:  read_only
        .address_space:  global
        .offset:         72
        .size:           8
        .value_kind:     global_buffer
      - .actual_access:  write_only
        .address_space:  global
        .offset:         80
        .size:           8
        .value_kind:     global_buffer
      - .address_space:  global
        .offset:         88
        .size:           8
        .value_kind:     global_buffer
      - .offset:         96
        .size:           4
        .value_kind:     by_value
      - .offset:         100
        .size:           4
        .value_kind:     by_value
      - .offset:         104
        .size:           4
        .value_kind:     by_value
      - .offset:         108
        .size:           4
        .value_kind:     by_value
      - .offset:         112
        .size:           1
        .value_kind:     by_value
      - .offset:         113
        .size:           1
        .value_kind:     by_value
    .group_segment_fixed_size: 10244
    .kernarg_segment_align: 8
    .kernarg_segment_size: 116
    .language:       OpenCL C
    .language_version:
      - 2
      - 0
    .max_flat_workgroup_size: 512
    .name:           _ZN9rocsparseL45csrgemm_symbolic_fill_block_per_row_multipassILj512ELj16ELj2048ELj64EiiEEvT4_PKS1_S3_PKT3_S3_S6_S3_S6_S3_S6_PS1_PS4_21rocsparse_index_base_S9_S9_S9_bb
    .private_segment_fixed_size: 0
    .sgpr_count:     72
    .sgpr_spill_count: 0
    .symbol:         _ZN9rocsparseL45csrgemm_symbolic_fill_block_per_row_multipassILj512ELj16ELj2048ELj64EiiEEvT4_PKS1_S3_PKT3_S3_S6_S3_S6_S3_S6_PS1_PS4_21rocsparse_index_base_S9_S9_S9_bb.kd
    .uniform_work_group_size: 1
    .uses_dynamic_stack: false
    .vgpr_count:     22
    .vgpr_spill_count: 0
    .wavefront_size: 64
  - .args:
      - .offset:         0
        .size:           4
        .value_kind:     by_value
      - .actual_access:  read_only
        .address_space:  global
        .offset:         8
        .size:           8
        .value_kind:     global_buffer
      - .actual_access:  write_only
        .address_space:  global
        .offset:         16
        .size:           8
        .value_kind:     global_buffer
      - .offset:         24
        .size:           4
        .value_kind:     hidden_block_count_x
      - .offset:         28
        .size:           4
        .value_kind:     hidden_block_count_y
      - .offset:         32
        .size:           4
        .value_kind:     hidden_block_count_z
      - .offset:         36
        .size:           2
        .value_kind:     hidden_group_size_x
      - .offset:         38
        .size:           2
        .value_kind:     hidden_group_size_y
      - .offset:         40
        .size:           2
        .value_kind:     hidden_group_size_z
      - .offset:         42
        .size:           2
        .value_kind:     hidden_remainder_x
      - .offset:         44
        .size:           2
        .value_kind:     hidden_remainder_y
      - .offset:         46
        .size:           2
        .value_kind:     hidden_remainder_z
      - .offset:         64
        .size:           8
        .value_kind:     hidden_global_offset_x
      - .offset:         72
        .size:           8
        .value_kind:     hidden_global_offset_y
      - .offset:         80
        .size:           8
        .value_kind:     hidden_global_offset_z
      - .offset:         88
        .size:           2
        .value_kind:     hidden_grid_dims
    .group_segment_fixed_size: 1024
    .kernarg_segment_align: 8
    .kernarg_segment_size: 280
    .language:       OpenCL C
    .language_version:
      - 2
      - 0
    .max_flat_workgroup_size: 256
    .name:           _ZN9rocsparseL34csrgemm_symbolic_max_row_nnz_part1ILj256EliEEvT1_PKT0_PS1_
    .private_segment_fixed_size: 0
    .sgpr_count:     15
    .sgpr_spill_count: 0
    .symbol:         _ZN9rocsparseL34csrgemm_symbolic_max_row_nnz_part1ILj256EliEEvT1_PKT0_PS1_.kd
    .uniform_work_group_size: 1
    .uses_dynamic_stack: false
    .vgpr_count:     9
    .vgpr_spill_count: 0
    .wavefront_size: 64
  - .args:
      - .offset:         0
        .size:           4
        .value_kind:     by_value
      - .actual_access:  read_only
        .address_space:  global
        .offset:         8
        .size:           8
        .value_kind:     global_buffer
      - .actual_access:  write_only
        .address_space:  global
        .offset:         16
        .size:           8
        .value_kind:     global_buffer
      - .actual_access:  write_only
        .address_space:  global
        .offset:         24
        .size:           8
        .value_kind:     global_buffer
      - .offset:         32
        .size:           4
        .value_kind:     by_value
      - .offset:         40
        .size:           4
        .value_kind:     hidden_block_count_x
      - .offset:         44
        .size:           4
        .value_kind:     hidden_block_count_y
      - .offset:         48
        .size:           4
        .value_kind:     hidden_block_count_z
      - .offset:         52
        .size:           2
        .value_kind:     hidden_group_size_x
      - .offset:         54
        .size:           2
        .value_kind:     hidden_group_size_y
      - .offset:         56
        .size:           2
        .value_kind:     hidden_group_size_z
      - .offset:         58
        .size:           2
        .value_kind:     hidden_remainder_x
      - .offset:         60
        .size:           2
        .value_kind:     hidden_remainder_y
      - .offset:         62
        .size:           2
        .value_kind:     hidden_remainder_z
      - .offset:         80
        .size:           8
        .value_kind:     hidden_global_offset_x
      - .offset:         88
        .size:           8
        .value_kind:     hidden_global_offset_y
      - .offset:         96
        .size:           8
        .value_kind:     hidden_global_offset_z
      - .offset:         104
        .size:           2
        .value_kind:     hidden_grid_dims
    .group_segment_fixed_size: 11264
    .kernarg_segment_align: 8
    .kernarg_segment_size: 296
    .language:       OpenCL C
    .language_version:
      - 2
      - 0
    .max_flat_workgroup_size: 256
    .name:           _ZN9rocsparseL35csrgemm_symbolic_group_reduce_part2ILj256ELj11EliEEvT2_PKT1_PS1_Pij
    .private_segment_fixed_size: 0
    .sgpr_count:     64
    .sgpr_spill_count: 0
    .symbol:         _ZN9rocsparseL35csrgemm_symbolic_group_reduce_part2ILj256ELj11EliEEvT2_PKT1_PS1_Pij.kd
    .uniform_work_group_size: 1
    .uses_dynamic_stack: false
    .vgpr_count:     22
    .vgpr_spill_count: 0
    .wavefront_size: 64
  - .args:
      - .offset:         0
        .size:           4
        .value_kind:     by_value
      - .offset:         4
        .size:           4
        .value_kind:     by_value
      - .actual_access:  read_only
        .address_space:  global
        .offset:         8
        .size:           8
        .value_kind:     global_buffer
      - .actual_access:  read_only
        .address_space:  global
        .offset:         16
        .size:           8
        .value_kind:     global_buffer
      - .actual_access:  read_only
        .address_space:  global
        .offset:         24
        .size:           8
        .value_kind:     global_buffer
      - .actual_access:  read_only
        .address_space:  global
        .offset:         32
        .size:           8
        .value_kind:     global_buffer
      - .actual_access:  read_only
        .address_space:  global
        .offset:         40
        .size:           8
        .value_kind:     global_buffer
      - .actual_access:  read_only
        .address_space:  global
        .offset:         48
        .size:           8
        .value_kind:     global_buffer
      - .actual_access:  read_only
        .address_space:  global
        .offset:         56
        .size:           8
        .value_kind:     global_buffer
      - .actual_access:  read_only
        .address_space:  global
        .offset:         64
        .size:           8
        .value_kind:     global_buffer
      - .actual_access:  read_only
        .address_space:  global
        .offset:         72
        .size:           8
        .value_kind:     global_buffer
      - .actual_access:  write_only
        .address_space:  global
        .offset:         80
        .size:           8
        .value_kind:     global_buffer
      - .offset:         88
        .size:           4
        .value_kind:     by_value
      - .offset:         92
        .size:           4
        .value_kind:     by_value
      - .offset:         96
        .size:           4
        .value_kind:     by_value
      - .offset:         100
        .size:           4
        .value_kind:     by_value
      - .offset:         104
        .size:           1
        .value_kind:     by_value
      - .offset:         105
        .size:           1
        .value_kind:     by_value
    .group_segment_fixed_size: 2048
    .kernarg_segment_align: 8
    .kernarg_segment_size: 108
    .language:       OpenCL C
    .language_version:
      - 2
      - 0
    .max_flat_workgroup_size: 256
    .name:           _ZN9rocsparseL32csrgemm_symbolic_fill_wf_per_rowILj256ELj8ELj16ELj137EliEEvT4_S1_PKS1_S3_PKT3_S3_S6_S3_S6_S3_S6_PS1_21rocsparse_index_base_S8_S8_S8_bb
    .private_segment_fixed_size: 0
    .sgpr_count:     44
    .sgpr_spill_count: 0
    .symbol:         _ZN9rocsparseL32csrgemm_symbolic_fill_wf_per_rowILj256ELj8ELj16ELj137EliEEvT4_S1_PKS1_S3_PKT3_S3_S6_S3_S6_S3_S6_PS1_21rocsparse_index_base_S8_S8_S8_bb.kd
    .uniform_work_group_size: 1
    .uses_dynamic_stack: false
    .vgpr_count:     25
    .vgpr_spill_count: 0
    .wavefront_size: 64
  - .args:
      - .offset:         0
        .size:           4
        .value_kind:     by_value
      - .offset:         4
        .size:           4
        .value_kind:     by_value
      - .actual_access:  read_only
        .address_space:  global
        .offset:         8
        .size:           8
        .value_kind:     global_buffer
      - .actual_access:  read_only
        .address_space:  global
        .offset:         16
        .size:           8
        .value_kind:     global_buffer
      - .actual_access:  read_only
        .address_space:  global
        .offset:         24
        .size:           8
        .value_kind:     global_buffer
      - .actual_access:  read_only
        .address_space:  global
        .offset:         32
        .size:           8
        .value_kind:     global_buffer
      - .actual_access:  read_only
        .address_space:  global
        .offset:         40
        .size:           8
        .value_kind:     global_buffer
      - .actual_access:  read_only
        .address_space:  global
        .offset:         48
        .size:           8
        .value_kind:     global_buffer
      - .actual_access:  read_only
        .address_space:  global
        .offset:         56
        .size:           8
        .value_kind:     global_buffer
      - .actual_access:  read_only
        .address_space:  global
        .offset:         64
        .size:           8
        .value_kind:     global_buffer
      - .actual_access:  read_only
        .address_space:  global
        .offset:         72
        .size:           8
        .value_kind:     global_buffer
      - .actual_access:  write_only
        .address_space:  global
        .offset:         80
        .size:           8
        .value_kind:     global_buffer
      - .offset:         88
        .size:           4
        .value_kind:     by_value
      - .offset:         92
        .size:           4
        .value_kind:     by_value
      - .offset:         96
        .size:           4
        .value_kind:     by_value
      - .offset:         100
        .size:           4
        .value_kind:     by_value
      - .offset:         104
        .size:           1
        .value_kind:     by_value
      - .offset:         105
        .size:           1
        .value_kind:     by_value
    .group_segment_fixed_size: 2048
    .kernarg_segment_align: 8
    .kernarg_segment_size: 108
    .language:       OpenCL C
    .language_version:
      - 2
      - 0
    .max_flat_workgroup_size: 256
    .name:           _ZN9rocsparseL32csrgemm_symbolic_fill_wf_per_rowILj256ELj16ELj32ELj137EliEEvT4_S1_PKS1_S3_PKT3_S3_S6_S3_S6_S3_S6_PS1_21rocsparse_index_base_S8_S8_S8_bb
    .private_segment_fixed_size: 0
    .sgpr_count:     56
    .sgpr_spill_count: 0
    .symbol:         _ZN9rocsparseL32csrgemm_symbolic_fill_wf_per_rowILj256ELj16ELj32ELj137EliEEvT4_S1_PKS1_S3_PKT3_S3_S6_S3_S6_S3_S6_PS1_21rocsparse_index_base_S8_S8_S8_bb.kd
    .uniform_work_group_size: 1
    .uses_dynamic_stack: false
    .vgpr_count:     25
    .vgpr_spill_count: 0
    .wavefront_size: 64
  - .args:
      - .offset:         0
        .size:           4
        .value_kind:     by_value
      - .actual_access:  read_only
        .address_space:  global
        .offset:         8
        .size:           8
        .value_kind:     global_buffer
      - .actual_access:  read_only
        .address_space:  global
        .offset:         16
        .size:           8
        .value_kind:     global_buffer
      - .actual_access:  read_only
        .address_space:  global
        .offset:         24
        .size:           8
        .value_kind:     global_buffer
      - .actual_access:  read_only
        .address_space:  global
        .offset:         32
        .size:           8
        .value_kind:     global_buffer
      - .actual_access:  read_only
        .address_space:  global
        .offset:         40
        .size:           8
        .value_kind:     global_buffer
      - .actual_access:  read_only
        .address_space:  global
        .offset:         48
        .size:           8
        .value_kind:     global_buffer
      - .actual_access:  read_only
        .address_space:  global
        .offset:         56
        .size:           8
        .value_kind:     global_buffer
      - .actual_access:  read_only
        .address_space:  global
        .offset:         64
        .size:           8
        .value_kind:     global_buffer
      - .actual_access:  read_only
        .address_space:  global
        .offset:         72
        .size:           8
        .value_kind:     global_buffer
      - .actual_access:  write_only
        .address_space:  global
        .offset:         80
        .size:           8
        .value_kind:     global_buffer
      - .offset:         88
        .size:           4
        .value_kind:     by_value
      - .offset:         92
        .size:           4
        .value_kind:     by_value
      - .offset:         96
        .size:           4
        .value_kind:     by_value
      - .offset:         100
        .size:           4
        .value_kind:     by_value
      - .offset:         104
        .size:           1
        .value_kind:     by_value
      - .offset:         105
        .size:           1
        .value_kind:     by_value
    .group_segment_fixed_size: 0
    .kernarg_segment_align: 8
    .kernarg_segment_size: 108
    .language:       OpenCL C
    .language_version:
      - 2
      - 0
    .max_flat_workgroup_size: 128
    .name:           _ZN9rocsparseL35csrgemm_symbolic_fill_block_per_rowILj128ELj16ELj256ELj137ELj32EliEEvT5_PKS1_S3_PKT4_S3_S6_S3_S6_S3_S6_PS1_21rocsparse_index_base_S8_S8_S8_bb
    .private_segment_fixed_size: 0
    .sgpr_count:     49
    .sgpr_spill_count: 0
    .symbol:         _ZN9rocsparseL35csrgemm_symbolic_fill_block_per_rowILj128ELj16ELj256ELj137ELj32EliEEvT5_PKS1_S3_PKT4_S3_S6_S3_S6_S3_S6_PS1_21rocsparse_index_base_S8_S8_S8_bb.kd
    .uniform_work_group_size: 1
    .uses_dynamic_stack: false
    .vgpr_count:     16
    .vgpr_spill_count: 0
    .wavefront_size: 64
  - .args:
      - .offset:         0
        .size:           4
        .value_kind:     by_value
      - .actual_access:  read_only
        .address_space:  global
        .offset:         8
        .size:           8
        .value_kind:     global_buffer
      - .actual_access:  read_only
        .address_space:  global
        .offset:         16
        .size:           8
        .value_kind:     global_buffer
      - .actual_access:  read_only
        .address_space:  global
        .offset:         24
        .size:           8
        .value_kind:     global_buffer
      - .actual_access:  read_only
        .address_space:  global
        .offset:         32
        .size:           8
        .value_kind:     global_buffer
      - .actual_access:  read_only
        .address_space:  global
        .offset:         40
        .size:           8
        .value_kind:     global_buffer
      - .actual_access:  read_only
        .address_space:  global
        .offset:         48
        .size:           8
        .value_kind:     global_buffer
      - .actual_access:  read_only
        .address_space:  global
        .offset:         56
        .size:           8
        .value_kind:     global_buffer
      - .actual_access:  read_only
        .address_space:  global
        .offset:         64
        .size:           8
        .value_kind:     global_buffer
      - .actual_access:  read_only
        .address_space:  global
        .offset:         72
        .size:           8
        .value_kind:     global_buffer
      - .actual_access:  write_only
        .address_space:  global
        .offset:         80
        .size:           8
        .value_kind:     global_buffer
      - .offset:         88
        .size:           4
        .value_kind:     by_value
      - .offset:         92
        .size:           4
        .value_kind:     by_value
      - .offset:         96
        .size:           4
        .value_kind:     by_value
      - .offset:         100
        .size:           4
        .value_kind:     by_value
      - .offset:         104
        .size:           1
        .value_kind:     by_value
      - .offset:         105
        .size:           1
        .value_kind:     by_value
    .group_segment_fixed_size: 0
    .kernarg_segment_align: 8
    .kernarg_segment_size: 108
    .language:       OpenCL C
    .language_version:
      - 2
      - 0
    .max_flat_workgroup_size: 128
    .name:           _ZN9rocsparseL35csrgemm_symbolic_fill_block_per_rowILj128ELj16ELj256ELj137ELj64EliEEvT5_PKS1_S3_PKT4_S3_S6_S3_S6_S3_S6_PS1_21rocsparse_index_base_S8_S8_S8_bb
    .private_segment_fixed_size: 0
    .sgpr_count:     49
    .sgpr_spill_count: 0
    .symbol:         _ZN9rocsparseL35csrgemm_symbolic_fill_block_per_rowILj128ELj16ELj256ELj137ELj64EliEEvT5_PKS1_S3_PKT4_S3_S6_S3_S6_S3_S6_PS1_21rocsparse_index_base_S8_S8_S8_bb.kd
    .uniform_work_group_size: 1
    .uses_dynamic_stack: false
    .vgpr_count:     17
    .vgpr_spill_count: 0
    .wavefront_size: 64
  - .args:
      - .offset:         0
        .size:           4
        .value_kind:     by_value
      - .actual_access:  read_only
        .address_space:  global
        .offset:         8
        .size:           8
        .value_kind:     global_buffer
      - .actual_access:  read_only
        .address_space:  global
        .offset:         16
        .size:           8
        .value_kind:     global_buffer
      - .actual_access:  read_only
        .address_space:  global
        .offset:         24
        .size:           8
        .value_kind:     global_buffer
      - .actual_access:  read_only
        .address_space:  global
        .offset:         32
        .size:           8
        .value_kind:     global_buffer
      - .actual_access:  read_only
        .address_space:  global
        .offset:         40
        .size:           8
        .value_kind:     global_buffer
      - .actual_access:  read_only
        .address_space:  global
        .offset:         48
        .size:           8
        .value_kind:     global_buffer
      - .actual_access:  read_only
        .address_space:  global
        .offset:         56
        .size:           8
        .value_kind:     global_buffer
      - .actual_access:  read_only
        .address_space:  global
        .offset:         64
        .size:           8
        .value_kind:     global_buffer
      - .actual_access:  read_only
        .address_space:  global
        .offset:         72
        .size:           8
        .value_kind:     global_buffer
      - .actual_access:  write_only
        .address_space:  global
        .offset:         80
        .size:           8
        .value_kind:     global_buffer
      - .offset:         88
        .size:           4
        .value_kind:     by_value
      - .offset:         92
        .size:           4
        .value_kind:     by_value
      - .offset:         96
        .size:           4
        .value_kind:     by_value
      - .offset:         100
        .size:           4
        .value_kind:     by_value
      - .offset:         104
        .size:           1
        .value_kind:     by_value
      - .offset:         105
        .size:           1
        .value_kind:     by_value
    .group_segment_fixed_size: 0
    .kernarg_segment_align: 8
    .kernarg_segment_size: 108
    .language:       OpenCL C
    .language_version:
      - 2
      - 0
    .max_flat_workgroup_size: 256
    .name:           _ZN9rocsparseL35csrgemm_symbolic_fill_block_per_rowILj256ELj32ELj512ELj137ELj32EliEEvT5_PKS1_S3_PKT4_S3_S6_S3_S6_S3_S6_PS1_21rocsparse_index_base_S8_S8_S8_bb
    .private_segment_fixed_size: 0
    .sgpr_count:     49
    .sgpr_spill_count: 0
    .symbol:         _ZN9rocsparseL35csrgemm_symbolic_fill_block_per_rowILj256ELj32ELj512ELj137ELj32EliEEvT5_PKS1_S3_PKT4_S3_S6_S3_S6_S3_S6_PS1_21rocsparse_index_base_S8_S8_S8_bb.kd
    .uniform_work_group_size: 1
    .uses_dynamic_stack: false
    .vgpr_count:     17
    .vgpr_spill_count: 0
    .wavefront_size: 64
  - .args:
      - .offset:         0
        .size:           4
        .value_kind:     by_value
      - .actual_access:  read_only
        .address_space:  global
        .offset:         8
        .size:           8
        .value_kind:     global_buffer
      - .actual_access:  read_only
        .address_space:  global
        .offset:         16
        .size:           8
        .value_kind:     global_buffer
      - .actual_access:  read_only
        .address_space:  global
        .offset:         24
        .size:           8
        .value_kind:     global_buffer
      - .actual_access:  read_only
        .address_space:  global
        .offset:         32
        .size:           8
        .value_kind:     global_buffer
      - .actual_access:  read_only
        .address_space:  global
        .offset:         40
        .size:           8
        .value_kind:     global_buffer
      - .actual_access:  read_only
        .address_space:  global
        .offset:         48
        .size:           8
        .value_kind:     global_buffer
      - .actual_access:  read_only
        .address_space:  global
        .offset:         56
        .size:           8
        .value_kind:     global_buffer
      - .actual_access:  read_only
        .address_space:  global
        .offset:         64
        .size:           8
        .value_kind:     global_buffer
      - .actual_access:  read_only
        .address_space:  global
        .offset:         72
        .size:           8
        .value_kind:     global_buffer
      - .actual_access:  write_only
        .address_space:  global
        .offset:         80
        .size:           8
        .value_kind:     global_buffer
      - .offset:         88
        .size:           4
        .value_kind:     by_value
      - .offset:         92
        .size:           4
        .value_kind:     by_value
      - .offset:         96
        .size:           4
        .value_kind:     by_value
      - .offset:         100
        .size:           4
        .value_kind:     by_value
      - .offset:         104
        .size:           1
        .value_kind:     by_value
      - .offset:         105
        .size:           1
        .value_kind:     by_value
    .group_segment_fixed_size: 0
    .kernarg_segment_align: 8
    .kernarg_segment_size: 108
    .language:       OpenCL C
    .language_version:
      - 2
      - 0
    .max_flat_workgroup_size: 256
    .name:           _ZN9rocsparseL35csrgemm_symbolic_fill_block_per_rowILj256ELj32ELj512ELj137ELj64EliEEvT5_PKS1_S3_PKT4_S3_S6_S3_S6_S3_S6_PS1_21rocsparse_index_base_S8_S8_S8_bb
    .private_segment_fixed_size: 0
    .sgpr_count:     49
    .sgpr_spill_count: 0
    .symbol:         _ZN9rocsparseL35csrgemm_symbolic_fill_block_per_rowILj256ELj32ELj512ELj137ELj64EliEEvT5_PKS1_S3_PKT4_S3_S6_S3_S6_S3_S6_PS1_21rocsparse_index_base_S8_S8_S8_bb.kd
    .uniform_work_group_size: 1
    .uses_dynamic_stack: false
    .vgpr_count:     16
    .vgpr_spill_count: 0
    .wavefront_size: 64
  - .args:
      - .offset:         0
        .size:           4
        .value_kind:     by_value
      - .actual_access:  read_only
        .address_space:  global
        .offset:         8
        .size:           8
        .value_kind:     global_buffer
      - .actual_access:  read_only
        .address_space:  global
        .offset:         16
        .size:           8
        .value_kind:     global_buffer
      - .actual_access:  read_only
        .address_space:  global
        .offset:         24
        .size:           8
        .value_kind:     global_buffer
      - .actual_access:  read_only
        .address_space:  global
        .offset:         32
        .size:           8
        .value_kind:     global_buffer
      - .actual_access:  read_only
        .address_space:  global
        .offset:         40
        .size:           8
        .value_kind:     global_buffer
      - .actual_access:  read_only
        .address_space:  global
        .offset:         48
        .size:           8
        .value_kind:     global_buffer
      - .actual_access:  read_only
        .address_space:  global
        .offset:         56
        .size:           8
        .value_kind:     global_buffer
      - .actual_access:  read_only
        .address_space:  global
        .offset:         64
        .size:           8
        .value_kind:     global_buffer
      - .actual_access:  read_only
        .address_space:  global
        .offset:         72
        .size:           8
        .value_kind:     global_buffer
      - .actual_access:  write_only
        .address_space:  global
        .offset:         80
        .size:           8
        .value_kind:     global_buffer
      - .offset:         88
        .size:           4
        .value_kind:     by_value
      - .offset:         92
        .size:           4
        .value_kind:     by_value
      - .offset:         96
        .size:           4
        .value_kind:     by_value
      - .offset:         100
        .size:           4
        .value_kind:     by_value
      - .offset:         104
        .size:           1
        .value_kind:     by_value
      - .offset:         105
        .size:           1
        .value_kind:     by_value
    .group_segment_fixed_size: 0
    .kernarg_segment_align: 8
    .kernarg_segment_size: 108
    .language:       OpenCL C
    .language_version:
      - 2
      - 0
    .max_flat_workgroup_size: 512
    .name:           _ZN9rocsparseL35csrgemm_symbolic_fill_block_per_rowILj512ELj32ELj1024ELj137ELj32EliEEvT5_PKS1_S3_PKT4_S3_S6_S3_S6_S3_S6_PS1_21rocsparse_index_base_S8_S8_S8_bb
    .private_segment_fixed_size: 0
    .sgpr_count:     50
    .sgpr_spill_count: 0
    .symbol:         _ZN9rocsparseL35csrgemm_symbolic_fill_block_per_rowILj512ELj32ELj1024ELj137ELj32EliEEvT5_PKS1_S3_PKT4_S3_S6_S3_S6_S3_S6_PS1_21rocsparse_index_base_S8_S8_S8_bb.kd
    .uniform_work_group_size: 1
    .uses_dynamic_stack: false
    .vgpr_count:     18
    .vgpr_spill_count: 0
    .wavefront_size: 64
  - .args:
      - .offset:         0
        .size:           4
        .value_kind:     by_value
      - .actual_access:  read_only
        .address_space:  global
        .offset:         8
        .size:           8
        .value_kind:     global_buffer
      - .actual_access:  read_only
        .address_space:  global
        .offset:         16
        .size:           8
        .value_kind:     global_buffer
      - .actual_access:  read_only
        .address_space:  global
        .offset:         24
        .size:           8
        .value_kind:     global_buffer
      - .actual_access:  read_only
        .address_space:  global
        .offset:         32
        .size:           8
        .value_kind:     global_buffer
      - .actual_access:  read_only
        .address_space:  global
        .offset:         40
        .size:           8
        .value_kind:     global_buffer
      - .actual_access:  read_only
        .address_space:  global
        .offset:         48
        .size:           8
        .value_kind:     global_buffer
      - .actual_access:  read_only
        .address_space:  global
        .offset:         56
        .size:           8
        .value_kind:     global_buffer
      - .actual_access:  read_only
        .address_space:  global
        .offset:         64
        .size:           8
        .value_kind:     global_buffer
      - .actual_access:  read_only
        .address_space:  global
        .offset:         72
        .size:           8
        .value_kind:     global_buffer
      - .actual_access:  write_only
        .address_space:  global
        .offset:         80
        .size:           8
        .value_kind:     global_buffer
      - .offset:         88
        .size:           4
        .value_kind:     by_value
      - .offset:         92
        .size:           4
        .value_kind:     by_value
      - .offset:         96
        .size:           4
        .value_kind:     by_value
      - .offset:         100
        .size:           4
        .value_kind:     by_value
      - .offset:         104
        .size:           1
        .value_kind:     by_value
      - .offset:         105
        .size:           1
        .value_kind:     by_value
    .group_segment_fixed_size: 0
    .kernarg_segment_align: 8
    .kernarg_segment_size: 108
    .language:       OpenCL C
    .language_version:
      - 2
      - 0
    .max_flat_workgroup_size: 512
    .name:           _ZN9rocsparseL35csrgemm_symbolic_fill_block_per_rowILj512ELj32ELj1024ELj137ELj64EliEEvT5_PKS1_S3_PKT4_S3_S6_S3_S6_S3_S6_PS1_21rocsparse_index_base_S8_S8_S8_bb
    .private_segment_fixed_size: 0
    .sgpr_count:     47
    .sgpr_spill_count: 0
    .symbol:         _ZN9rocsparseL35csrgemm_symbolic_fill_block_per_rowILj512ELj32ELj1024ELj137ELj64EliEEvT5_PKS1_S3_PKT4_S3_S6_S3_S6_S3_S6_PS1_21rocsparse_index_base_S8_S8_S8_bb.kd
    .uniform_work_group_size: 1
    .uses_dynamic_stack: false
    .vgpr_count:     17
    .vgpr_spill_count: 0
    .wavefront_size: 64
  - .args:
      - .offset:         0
        .size:           4
        .value_kind:     by_value
      - .actual_access:  read_only
        .address_space:  global
        .offset:         8
        .size:           8
        .value_kind:     global_buffer
      - .actual_access:  read_only
        .address_space:  global
        .offset:         16
        .size:           8
        .value_kind:     global_buffer
      - .actual_access:  read_only
        .address_space:  global
        .offset:         24
        .size:           8
        .value_kind:     global_buffer
      - .actual_access:  read_only
        .address_space:  global
        .offset:         32
        .size:           8
        .value_kind:     global_buffer
      - .actual_access:  read_only
        .address_space:  global
        .offset:         40
        .size:           8
        .value_kind:     global_buffer
      - .actual_access:  read_only
        .address_space:  global
        .offset:         48
        .size:           8
        .value_kind:     global_buffer
      - .actual_access:  read_only
        .address_space:  global
        .offset:         56
        .size:           8
        .value_kind:     global_buffer
      - .actual_access:  read_only
        .address_space:  global
        .offset:         64
        .size:           8
        .value_kind:     global_buffer
      - .actual_access:  read_only
        .address_space:  global
        .offset:         72
        .size:           8
        .value_kind:     global_buffer
      - .actual_access:  write_only
        .address_space:  global
        .offset:         80
        .size:           8
        .value_kind:     global_buffer
      - .offset:         88
        .size:           4
        .value_kind:     by_value
      - .offset:         92
        .size:           4
        .value_kind:     by_value
      - .offset:         96
        .size:           4
        .value_kind:     by_value
      - .offset:         100
        .size:           4
        .value_kind:     by_value
      - .offset:         104
        .size:           1
        .value_kind:     by_value
      - .offset:         105
        .size:           1
        .value_kind:     by_value
    .group_segment_fixed_size: 0
    .kernarg_segment_align: 8
    .kernarg_segment_size: 108
    .language:       OpenCL C
    .language_version:
      - 2
      - 0
    .max_flat_workgroup_size: 1024
    .name:           _ZN9rocsparseL35csrgemm_symbolic_fill_block_per_rowILj1024ELj32ELj2048ELj137ELj32EliEEvT5_PKS1_S3_PKT4_S3_S6_S3_S6_S3_S6_PS1_21rocsparse_index_base_S8_S8_S8_bb
    .private_segment_fixed_size: 0
    .sgpr_count:     82
    .sgpr_spill_count: 0
    .symbol:         _ZN9rocsparseL35csrgemm_symbolic_fill_block_per_rowILj1024ELj32ELj2048ELj137ELj32EliEEvT5_PKS1_S3_PKT4_S3_S6_S3_S6_S3_S6_PS1_21rocsparse_index_base_S8_S8_S8_bb.kd
    .uniform_work_group_size: 1
    .uses_dynamic_stack: false
    .vgpr_count:     18
    .vgpr_spill_count: 0
    .wavefront_size: 64
  - .args:
      - .offset:         0
        .size:           4
        .value_kind:     by_value
      - .actual_access:  read_only
        .address_space:  global
        .offset:         8
        .size:           8
        .value_kind:     global_buffer
      - .actual_access:  read_only
        .address_space:  global
        .offset:         16
        .size:           8
        .value_kind:     global_buffer
      - .actual_access:  read_only
        .address_space:  global
        .offset:         24
        .size:           8
        .value_kind:     global_buffer
      - .actual_access:  read_only
        .address_space:  global
        .offset:         32
        .size:           8
        .value_kind:     global_buffer
      - .actual_access:  read_only
        .address_space:  global
        .offset:         40
        .size:           8
        .value_kind:     global_buffer
      - .actual_access:  read_only
        .address_space:  global
        .offset:         48
        .size:           8
        .value_kind:     global_buffer
      - .actual_access:  read_only
        .address_space:  global
        .offset:         56
        .size:           8
        .value_kind:     global_buffer
      - .actual_access:  read_only
        .address_space:  global
        .offset:         64
        .size:           8
        .value_kind:     global_buffer
      - .actual_access:  read_only
        .address_space:  global
        .offset:         72
        .size:           8
        .value_kind:     global_buffer
      - .actual_access:  write_only
        .address_space:  global
        .offset:         80
        .size:           8
        .value_kind:     global_buffer
      - .offset:         88
        .size:           4
        .value_kind:     by_value
      - .offset:         92
        .size:           4
        .value_kind:     by_value
      - .offset:         96
        .size:           4
        .value_kind:     by_value
      - .offset:         100
        .size:           4
        .value_kind:     by_value
      - .offset:         104
        .size:           1
        .value_kind:     by_value
      - .offset:         105
        .size:           1
        .value_kind:     by_value
    .group_segment_fixed_size: 0
    .kernarg_segment_align: 8
    .kernarg_segment_size: 108
    .language:       OpenCL C
    .language_version:
      - 2
      - 0
    .max_flat_workgroup_size: 1024
    .name:           _ZN9rocsparseL35csrgemm_symbolic_fill_block_per_rowILj1024ELj32ELj2048ELj137ELj64EliEEvT5_PKS1_S3_PKT4_S3_S6_S3_S6_S3_S6_PS1_21rocsparse_index_base_S8_S8_S8_bb
    .private_segment_fixed_size: 0
    .sgpr_count:     50
    .sgpr_spill_count: 0
    .symbol:         _ZN9rocsparseL35csrgemm_symbolic_fill_block_per_rowILj1024ELj32ELj2048ELj137ELj64EliEEvT5_PKS1_S3_PKT4_S3_S6_S3_S6_S3_S6_PS1_21rocsparse_index_base_S8_S8_S8_bb.kd
    .uniform_work_group_size: 1
    .uses_dynamic_stack: false
    .vgpr_count:     17
    .vgpr_spill_count: 0
    .wavefront_size: 64
  - .args:
      - .offset:         0
        .size:           4
        .value_kind:     by_value
      - .actual_access:  read_only
        .address_space:  global
        .offset:         8
        .size:           8
        .value_kind:     global_buffer
      - .actual_access:  read_only
        .address_space:  global
        .offset:         16
        .size:           8
        .value_kind:     global_buffer
      - .actual_access:  read_only
        .address_space:  global
        .offset:         24
        .size:           8
        .value_kind:     global_buffer
      - .actual_access:  read_only
        .address_space:  global
        .offset:         32
        .size:           8
        .value_kind:     global_buffer
      - .actual_access:  read_only
        .address_space:  global
        .offset:         40
        .size:           8
        .value_kind:     global_buffer
      - .actual_access:  read_only
        .address_space:  global
        .offset:         48
        .size:           8
        .value_kind:     global_buffer
      - .actual_access:  read_only
        .address_space:  global
        .offset:         56
        .size:           8
        .value_kind:     global_buffer
      - .actual_access:  read_only
        .address_space:  global
        .offset:         64
        .size:           8
        .value_kind:     global_buffer
      - .actual_access:  read_only
        .address_space:  global
        .offset:         72
        .size:           8
        .value_kind:     global_buffer
      - .actual_access:  write_only
        .address_space:  global
        .offset:         80
        .size:           8
        .value_kind:     global_buffer
      - .offset:         88
        .size:           4
        .value_kind:     by_value
      - .offset:         92
        .size:           4
        .value_kind:     by_value
      - .offset:         96
        .size:           4
        .value_kind:     by_value
      - .offset:         100
        .size:           4
        .value_kind:     by_value
      - .offset:         104
        .size:           1
        .value_kind:     by_value
      - .offset:         105
        .size:           1
        .value_kind:     by_value
    .group_segment_fixed_size: 0
    .kernarg_segment_align: 8
    .kernarg_segment_size: 108
    .language:       OpenCL C
    .language_version:
      - 2
      - 0
    .max_flat_workgroup_size: 1024
    .name:           _ZN9rocsparseL35csrgemm_symbolic_fill_block_per_rowILj1024ELj64ELj4096ELj137ELj32EliEEvT5_PKS1_S3_PKT4_S3_S6_S3_S6_S3_S6_PS1_21rocsparse_index_base_S8_S8_S8_bb
    .private_segment_fixed_size: 0
    .sgpr_count:     82
    .sgpr_spill_count: 0
    .symbol:         _ZN9rocsparseL35csrgemm_symbolic_fill_block_per_rowILj1024ELj64ELj4096ELj137ELj32EliEEvT5_PKS1_S3_PKT4_S3_S6_S3_S6_S3_S6_PS1_21rocsparse_index_base_S8_S8_S8_bb.kd
    .uniform_work_group_size: 1
    .uses_dynamic_stack: false
    .vgpr_count:     17
    .vgpr_spill_count: 0
    .wavefront_size: 64
  - .args:
      - .offset:         0
        .size:           4
        .value_kind:     by_value
      - .actual_access:  read_only
        .address_space:  global
        .offset:         8
        .size:           8
        .value_kind:     global_buffer
      - .actual_access:  read_only
        .address_space:  global
        .offset:         16
        .size:           8
        .value_kind:     global_buffer
      - .actual_access:  read_only
        .address_space:  global
        .offset:         24
        .size:           8
        .value_kind:     global_buffer
      - .actual_access:  read_only
        .address_space:  global
        .offset:         32
        .size:           8
        .value_kind:     global_buffer
      - .actual_access:  read_only
        .address_space:  global
        .offset:         40
        .size:           8
        .value_kind:     global_buffer
      - .actual_access:  read_only
        .address_space:  global
        .offset:         48
        .size:           8
        .value_kind:     global_buffer
      - .actual_access:  read_only
        .address_space:  global
        .offset:         56
        .size:           8
        .value_kind:     global_buffer
      - .actual_access:  read_only
        .address_space:  global
        .offset:         64
        .size:           8
        .value_kind:     global_buffer
      - .actual_access:  read_only
        .address_space:  global
        .offset:         72
        .size:           8
        .value_kind:     global_buffer
      - .actual_access:  write_only
        .address_space:  global
        .offset:         80
        .size:           8
        .value_kind:     global_buffer
      - .offset:         88
        .size:           4
        .value_kind:     by_value
      - .offset:         92
        .size:           4
        .value_kind:     by_value
      - .offset:         96
        .size:           4
        .value_kind:     by_value
      - .offset:         100
        .size:           4
        .value_kind:     by_value
      - .offset:         104
        .size:           1
        .value_kind:     by_value
      - .offset:         105
        .size:           1
        .value_kind:     by_value
    .group_segment_fixed_size: 0
    .kernarg_segment_align: 8
    .kernarg_segment_size: 108
    .language:       OpenCL C
    .language_version:
      - 2
      - 0
    .max_flat_workgroup_size: 1024
    .name:           _ZN9rocsparseL35csrgemm_symbolic_fill_block_per_rowILj1024ELj64ELj4096ELj137ELj64EliEEvT5_PKS1_S3_PKT4_S3_S6_S3_S6_S3_S6_PS1_21rocsparse_index_base_S8_S8_S8_bb
    .private_segment_fixed_size: 0
    .sgpr_count:     50
    .sgpr_spill_count: 0
    .symbol:         _ZN9rocsparseL35csrgemm_symbolic_fill_block_per_rowILj1024ELj64ELj4096ELj137ELj64EliEEvT5_PKS1_S3_PKT4_S3_S6_S3_S6_S3_S6_PS1_21rocsparse_index_base_S8_S8_S8_bb.kd
    .uniform_work_group_size: 1
    .uses_dynamic_stack: false
    .vgpr_count:     18
    .vgpr_spill_count: 0
    .wavefront_size: 64
  - .args:
      - .offset:         0
        .size:           4
        .value_kind:     by_value
      - .actual_access:  read_only
        .address_space:  global
        .offset:         8
        .size:           8
        .value_kind:     global_buffer
      - .actual_access:  read_only
        .address_space:  global
        .offset:         16
        .size:           8
        .value_kind:     global_buffer
      - .actual_access:  read_only
        .address_space:  global
        .offset:         24
        .size:           8
        .value_kind:     global_buffer
      - .actual_access:  read_only
        .address_space:  global
        .offset:         32
        .size:           8
        .value_kind:     global_buffer
      - .actual_access:  read_only
        .address_space:  global
        .offset:         40
        .size:           8
        .value_kind:     global_buffer
      - .actual_access:  read_only
        .address_space:  global
        .offset:         48
        .size:           8
        .value_kind:     global_buffer
      - .actual_access:  read_only
        .address_space:  global
        .offset:         56
        .size:           8
        .value_kind:     global_buffer
      - .actual_access:  read_only
        .address_space:  global
        .offset:         64
        .size:           8
        .value_kind:     global_buffer
      - .actual_access:  read_only
        .address_space:  global
        .offset:         72
        .size:           8
        .value_kind:     global_buffer
      - .actual_access:  write_only
        .address_space:  global
        .offset:         80
        .size:           8
        .value_kind:     global_buffer
      - .offset:         88
        .size:           4
        .value_kind:     by_value
      - .offset:         92
        .size:           4
        .value_kind:     by_value
      - .offset:         96
        .size:           4
        .value_kind:     by_value
      - .offset:         100
        .size:           4
        .value_kind:     by_value
      - .offset:         104
        .size:           1
        .value_kind:     by_value
      - .offset:         105
        .size:           1
        .value_kind:     by_value
    .group_segment_fixed_size: 0
    .kernarg_segment_align: 8
    .kernarg_segment_size: 108
    .language:       OpenCL C
    .language_version:
      - 2
      - 0
    .max_flat_workgroup_size: 1024
    .name:           _ZN9rocsparseL35csrgemm_symbolic_fill_block_per_rowILj1024ELj64ELj8192ELj137ELj32EliEEvT5_PKS1_S3_PKT4_S3_S6_S3_S6_S3_S6_PS1_21rocsparse_index_base_S8_S8_S8_bb
    .private_segment_fixed_size: 0
    .sgpr_count:     82
    .sgpr_spill_count: 0
    .symbol:         _ZN9rocsparseL35csrgemm_symbolic_fill_block_per_rowILj1024ELj64ELj8192ELj137ELj32EliEEvT5_PKS1_S3_PKT4_S3_S6_S3_S6_S3_S6_PS1_21rocsparse_index_base_S8_S8_S8_bb.kd
    .uniform_work_group_size: 1
    .uses_dynamic_stack: false
    .vgpr_count:     16
    .vgpr_spill_count: 0
    .wavefront_size: 64
  - .args:
      - .offset:         0
        .size:           4
        .value_kind:     by_value
      - .actual_access:  read_only
        .address_space:  global
        .offset:         8
        .size:           8
        .value_kind:     global_buffer
      - .actual_access:  read_only
        .address_space:  global
        .offset:         16
        .size:           8
        .value_kind:     global_buffer
      - .actual_access:  read_only
        .address_space:  global
        .offset:         24
        .size:           8
        .value_kind:     global_buffer
      - .actual_access:  read_only
        .address_space:  global
        .offset:         32
        .size:           8
        .value_kind:     global_buffer
      - .actual_access:  read_only
        .address_space:  global
        .offset:         40
        .size:           8
        .value_kind:     global_buffer
      - .actual_access:  read_only
        .address_space:  global
        .offset:         48
        .size:           8
        .value_kind:     global_buffer
      - .actual_access:  read_only
        .address_space:  global
        .offset:         56
        .size:           8
        .value_kind:     global_buffer
      - .actual_access:  read_only
        .address_space:  global
        .offset:         64
        .size:           8
        .value_kind:     global_buffer
      - .actual_access:  read_only
        .address_space:  global
        .offset:         72
        .size:           8
        .value_kind:     global_buffer
      - .actual_access:  write_only
        .address_space:  global
        .offset:         80
        .size:           8
        .value_kind:     global_buffer
      - .offset:         88
        .size:           4
        .value_kind:     by_value
      - .offset:         92
        .size:           4
        .value_kind:     by_value
      - .offset:         96
        .size:           4
        .value_kind:     by_value
      - .offset:         100
        .size:           4
        .value_kind:     by_value
      - .offset:         104
        .size:           1
        .value_kind:     by_value
      - .offset:         105
        .size:           1
        .value_kind:     by_value
    .group_segment_fixed_size: 0
    .kernarg_segment_align: 8
    .kernarg_segment_size: 108
    .language:       OpenCL C
    .language_version:
      - 2
      - 0
    .max_flat_workgroup_size: 1024
    .name:           _ZN9rocsparseL35csrgemm_symbolic_fill_block_per_rowILj1024ELj64ELj8192ELj137ELj64EliEEvT5_PKS1_S3_PKT4_S3_S6_S3_S6_S3_S6_PS1_21rocsparse_index_base_S8_S8_S8_bb
    .private_segment_fixed_size: 0
    .sgpr_count:     50
    .sgpr_spill_count: 0
    .symbol:         _ZN9rocsparseL35csrgemm_symbolic_fill_block_per_rowILj1024ELj64ELj8192ELj137ELj64EliEEvT5_PKS1_S3_PKT4_S3_S6_S3_S6_S3_S6_PS1_21rocsparse_index_base_S8_S8_S8_bb.kd
    .uniform_work_group_size: 1
    .uses_dynamic_stack: false
    .vgpr_count:     17
    .vgpr_spill_count: 0
    .wavefront_size: 64
  - .args:
      - .offset:         0
        .size:           4
        .value_kind:     by_value
      - .actual_access:  read_only
        .address_space:  global
        .offset:         8
        .size:           8
        .value_kind:     global_buffer
      - .actual_access:  read_only
        .address_space:  global
        .offset:         16
        .size:           8
        .value_kind:     global_buffer
      - .actual_access:  read_only
        .address_space:  global
        .offset:         24
        .size:           8
        .value_kind:     global_buffer
      - .actual_access:  read_only
        .address_space:  global
        .offset:         32
        .size:           8
        .value_kind:     global_buffer
      - .actual_access:  read_only
        .address_space:  global
        .offset:         40
        .size:           8
        .value_kind:     global_buffer
      - .actual_access:  read_only
        .address_space:  global
        .offset:         48
        .size:           8
        .value_kind:     global_buffer
      - .actual_access:  read_only
        .address_space:  global
        .offset:         56
        .size:           8
        .value_kind:     global_buffer
      - .actual_access:  read_only
        .address_space:  global
        .offset:         64
        .size:           8
        .value_kind:     global_buffer
      - .actual_access:  read_only
        .address_space:  global
        .offset:         72
        .size:           8
        .value_kind:     global_buffer
      - .actual_access:  write_only
        .address_space:  global
        .offset:         80
        .size:           8
        .value_kind:     global_buffer
      - .offset:         88
        .size:           4
        .value_kind:     by_value
      - .offset:         92
        .size:           4
        .value_kind:     by_value
      - .offset:         96
        .size:           4
        .value_kind:     by_value
      - .offset:         100
        .size:           4
        .value_kind:     by_value
      - .offset:         104
        .size:           1
        .value_kind:     by_value
      - .offset:         105
        .size:           1
        .value_kind:     by_value
    .group_segment_fixed_size: 0
    .kernarg_segment_align: 8
    .kernarg_segment_size: 108
    .language:       OpenCL C
    .language_version:
      - 2
      - 0
    .max_flat_workgroup_size: 1024
    .name:           _ZN9rocsparseL35csrgemm_symbolic_fill_block_per_rowILj1024ELj64ELj16384ELj137ELj32EliEEvT5_PKS1_S3_PKT4_S3_S6_S3_S6_S3_S6_PS1_21rocsparse_index_base_S8_S8_S8_bb
    .private_segment_fixed_size: 0
    .sgpr_count:     100
    .sgpr_spill_count: 19
    .symbol:         _ZN9rocsparseL35csrgemm_symbolic_fill_block_per_rowILj1024ELj64ELj16384ELj137ELj32EliEEvT5_PKS1_S3_PKT4_S3_S6_S3_S6_S3_S6_PS1_21rocsparse_index_base_S8_S8_S8_bb.kd
    .uniform_work_group_size: 1
    .uses_dynamic_stack: false
    .vgpr_count:     18
    .vgpr_spill_count: 0
    .wavefront_size: 64
  - .args:
      - .offset:         0
        .size:           4
        .value_kind:     by_value
      - .actual_access:  read_only
        .address_space:  global
        .offset:         8
        .size:           8
        .value_kind:     global_buffer
      - .actual_access:  read_only
        .address_space:  global
        .offset:         16
        .size:           8
        .value_kind:     global_buffer
      - .actual_access:  read_only
        .address_space:  global
        .offset:         24
        .size:           8
        .value_kind:     global_buffer
      - .actual_access:  read_only
        .address_space:  global
        .offset:         32
        .size:           8
        .value_kind:     global_buffer
      - .actual_access:  read_only
        .address_space:  global
        .offset:         40
        .size:           8
        .value_kind:     global_buffer
      - .actual_access:  read_only
        .address_space:  global
        .offset:         48
        .size:           8
        .value_kind:     global_buffer
      - .actual_access:  read_only
        .address_space:  global
        .offset:         56
        .size:           8
        .value_kind:     global_buffer
      - .actual_access:  read_only
        .address_space:  global
        .offset:         64
        .size:           8
        .value_kind:     global_buffer
      - .actual_access:  read_only
        .address_space:  global
        .offset:         72
        .size:           8
        .value_kind:     global_buffer
      - .actual_access:  write_only
        .address_space:  global
        .offset:         80
        .size:           8
        .value_kind:     global_buffer
      - .offset:         88
        .size:           4
        .value_kind:     by_value
      - .offset:         92
        .size:           4
        .value_kind:     by_value
      - .offset:         96
        .size:           4
        .value_kind:     by_value
      - .offset:         100
        .size:           4
        .value_kind:     by_value
      - .offset:         104
        .size:           1
        .value_kind:     by_value
      - .offset:         105
        .size:           1
        .value_kind:     by_value
    .group_segment_fixed_size: 0
    .kernarg_segment_align: 8
    .kernarg_segment_size: 108
    .language:       OpenCL C
    .language_version:
      - 2
      - 0
    .max_flat_workgroup_size: 1024
    .name:           _ZN9rocsparseL35csrgemm_symbolic_fill_block_per_rowILj1024ELj64ELj16384ELj137ELj64EliEEvT5_PKS1_S3_PKT4_S3_S6_S3_S6_S3_S6_PS1_21rocsparse_index_base_S8_S8_S8_bb
    .private_segment_fixed_size: 0
    .sgpr_count:     65
    .sgpr_spill_count: 0
    .symbol:         _ZN9rocsparseL35csrgemm_symbolic_fill_block_per_rowILj1024ELj64ELj16384ELj137ELj64EliEEvT5_PKS1_S3_PKT4_S3_S6_S3_S6_S3_S6_PS1_21rocsparse_index_base_S8_S8_S8_bb.kd
    .uniform_work_group_size: 1
    .uses_dynamic_stack: false
    .vgpr_count:     18
    .vgpr_spill_count: 0
    .wavefront_size: 64
  - .args:
      - .offset:         0
        .size:           4
        .value_kind:     by_value
      - .actual_access:  read_only
        .address_space:  global
        .offset:         8
        .size:           8
        .value_kind:     global_buffer
      - .actual_access:  read_only
        .address_space:  global
        .offset:         16
        .size:           8
        .value_kind:     global_buffer
      - .actual_access:  read_only
        .address_space:  global
        .offset:         24
        .size:           8
        .value_kind:     global_buffer
      - .actual_access:  read_only
        .address_space:  global
        .offset:         32
        .size:           8
        .value_kind:     global_buffer
      - .actual_access:  read_only
        .address_space:  global
        .offset:         40
        .size:           8
        .value_kind:     global_buffer
      - .actual_access:  read_only
        .address_space:  global
        .offset:         48
        .size:           8
        .value_kind:     global_buffer
      - .actual_access:  read_only
        .address_space:  global
        .offset:         56
        .size:           8
        .value_kind:     global_buffer
      - .actual_access:  read_only
        .address_space:  global
        .offset:         64
        .size:           8
        .value_kind:     global_buffer
      - .actual_access:  read_only
        .address_space:  global
        .offset:         72
        .size:           8
        .value_kind:     global_buffer
      - .actual_access:  write_only
        .address_space:  global
        .offset:         80
        .size:           8
        .value_kind:     global_buffer
      - .offset:         88
        .size:           4
        .value_kind:     by_value
      - .offset:         92
        .size:           4
        .value_kind:     by_value
      - .offset:         96
        .size:           4
        .value_kind:     by_value
      - .offset:         100
        .size:           4
        .value_kind:     by_value
      - .offset:         104
        .size:           1
        .value_kind:     by_value
      - .offset:         105
        .size:           1
        .value_kind:     by_value
    .group_segment_fixed_size: 0
    .kernarg_segment_align: 8
    .kernarg_segment_size: 108
    .language:       OpenCL C
    .language_version:
      - 2
      - 0
    .max_flat_workgroup_size: 1024
    .name:           _ZN9rocsparseL35csrgemm_symbolic_fill_block_per_rowILj1024ELj64ELj32768ELj137ELj32EliEEvT5_PKS1_S3_PKT4_S3_S6_S3_S6_S3_S6_PS1_21rocsparse_index_base_S8_S8_S8_bb
    .private_segment_fixed_size: 0
    .sgpr_count:     100
    .sgpr_spill_count: 19
    .symbol:         _ZN9rocsparseL35csrgemm_symbolic_fill_block_per_rowILj1024ELj64ELj32768ELj137ELj32EliEEvT5_PKS1_S3_PKT4_S3_S6_S3_S6_S3_S6_PS1_21rocsparse_index_base_S8_S8_S8_bb.kd
    .uniform_work_group_size: 1
    .uses_dynamic_stack: false
    .vgpr_count:     18
    .vgpr_spill_count: 0
    .wavefront_size: 64
  - .args:
      - .offset:         0
        .size:           4
        .value_kind:     by_value
      - .actual_access:  read_only
        .address_space:  global
        .offset:         8
        .size:           8
        .value_kind:     global_buffer
      - .actual_access:  read_only
        .address_space:  global
        .offset:         16
        .size:           8
        .value_kind:     global_buffer
      - .actual_access:  read_only
        .address_space:  global
        .offset:         24
        .size:           8
        .value_kind:     global_buffer
      - .actual_access:  read_only
        .address_space:  global
        .offset:         32
        .size:           8
        .value_kind:     global_buffer
      - .actual_access:  read_only
        .address_space:  global
        .offset:         40
        .size:           8
        .value_kind:     global_buffer
      - .actual_access:  read_only
        .address_space:  global
        .offset:         48
        .size:           8
        .value_kind:     global_buffer
      - .actual_access:  read_only
        .address_space:  global
        .offset:         56
        .size:           8
        .value_kind:     global_buffer
      - .actual_access:  read_only
        .address_space:  global
        .offset:         64
        .size:           8
        .value_kind:     global_buffer
      - .actual_access:  read_only
        .address_space:  global
        .offset:         72
        .size:           8
        .value_kind:     global_buffer
      - .actual_access:  write_only
        .address_space:  global
        .offset:         80
        .size:           8
        .value_kind:     global_buffer
      - .offset:         88
        .size:           4
        .value_kind:     by_value
      - .offset:         92
        .size:           4
        .value_kind:     by_value
      - .offset:         96
        .size:           4
        .value_kind:     by_value
      - .offset:         100
        .size:           4
        .value_kind:     by_value
      - .offset:         104
        .size:           1
        .value_kind:     by_value
      - .offset:         105
        .size:           1
        .value_kind:     by_value
    .group_segment_fixed_size: 0
    .kernarg_segment_align: 8
    .kernarg_segment_size: 108
    .language:       OpenCL C
    .language_version:
      - 2
      - 0
    .max_flat_workgroup_size: 1024
    .name:           _ZN9rocsparseL35csrgemm_symbolic_fill_block_per_rowILj1024ELj64ELj32768ELj137ELj64EliEEvT5_PKS1_S3_PKT4_S3_S6_S3_S6_S3_S6_PS1_21rocsparse_index_base_S8_S8_S8_bb
    .private_segment_fixed_size: 0
    .sgpr_count:     65
    .sgpr_spill_count: 0
    .symbol:         _ZN9rocsparseL35csrgemm_symbolic_fill_block_per_rowILj1024ELj64ELj32768ELj137ELj64EliEEvT5_PKS1_S3_PKT4_S3_S6_S3_S6_S3_S6_PS1_21rocsparse_index_base_S8_S8_S8_bb.kd
    .uniform_work_group_size: 1
    .uses_dynamic_stack: false
    .vgpr_count:     18
    .vgpr_spill_count: 0
    .wavefront_size: 64
  - .args:
      - .offset:         0
        .size:           4
        .value_kind:     by_value
      - .actual_access:  read_only
        .address_space:  global
        .offset:         8
        .size:           8
        .value_kind:     global_buffer
      - .actual_access:  read_only
        .address_space:  global
        .offset:         16
        .size:           8
        .value_kind:     global_buffer
      - .actual_access:  read_only
        .address_space:  global
        .offset:         24
        .size:           8
        .value_kind:     global_buffer
      - .actual_access:  read_only
        .address_space:  global
        .offset:         32
        .size:           8
        .value_kind:     global_buffer
      - .actual_access:  read_only
        .address_space:  global
        .offset:         40
        .size:           8
        .value_kind:     global_buffer
      - .actual_access:  read_only
        .address_space:  global
        .offset:         48
        .size:           8
        .value_kind:     global_buffer
      - .actual_access:  read_only
        .address_space:  global
        .offset:         56
        .size:           8
        .value_kind:     global_buffer
      - .actual_access:  read_only
        .address_space:  global
        .offset:         64
        .size:           8
        .value_kind:     global_buffer
      - .actual_access:  read_only
        .address_space:  global
        .offset:         72
        .size:           8
        .value_kind:     global_buffer
      - .actual_access:  write_only
        .address_space:  global
        .offset:         80
        .size:           8
        .value_kind:     global_buffer
      - .address_space:  global
        .offset:         88
        .size:           8
        .value_kind:     global_buffer
      - .offset:         96
        .size:           4
        .value_kind:     by_value
      - .offset:         100
        .size:           4
        .value_kind:     by_value
      - .offset:         104
        .size:           4
        .value_kind:     by_value
      - .offset:         108
        .size:           4
        .value_kind:     by_value
      - .offset:         112
        .size:           1
        .value_kind:     by_value
      - .offset:         113
        .size:           1
        .value_kind:     by_value
    .group_segment_fixed_size: 10244
    .kernarg_segment_align: 8
    .kernarg_segment_size: 116
    .language:       OpenCL C
    .language_version:
      - 2
      - 0
    .max_flat_workgroup_size: 512
    .name:           _ZN9rocsparseL45csrgemm_symbolic_fill_block_per_row_multipassILj512ELj16ELj2048ELj32EliEEvT4_PKS1_S3_PKT3_S3_S6_S3_S6_S3_S6_PS1_PS4_21rocsparse_index_base_S9_S9_S9_bb
    .private_segment_fixed_size: 0
    .sgpr_count:     91
    .sgpr_spill_count: 0
    .symbol:         _ZN9rocsparseL45csrgemm_symbolic_fill_block_per_row_multipassILj512ELj16ELj2048ELj32EliEEvT4_PKS1_S3_PKT3_S3_S6_S3_S6_S3_S6_PS1_PS4_21rocsparse_index_base_S9_S9_S9_bb.kd
    .uniform_work_group_size: 1
    .uses_dynamic_stack: false
    .vgpr_count:     31
    .vgpr_spill_count: 0
    .wavefront_size: 64
  - .args:
      - .offset:         0
        .size:           4
        .value_kind:     by_value
      - .actual_access:  read_only
        .address_space:  global
        .offset:         8
        .size:           8
        .value_kind:     global_buffer
      - .actual_access:  read_only
        .address_space:  global
        .offset:         16
        .size:           8
        .value_kind:     global_buffer
      - .actual_access:  read_only
        .address_space:  global
        .offset:         24
        .size:           8
        .value_kind:     global_buffer
      - .actual_access:  read_only
        .address_space:  global
        .offset:         32
        .size:           8
        .value_kind:     global_buffer
      - .actual_access:  read_only
        .address_space:  global
        .offset:         40
        .size:           8
        .value_kind:     global_buffer
      - .actual_access:  read_only
        .address_space:  global
        .offset:         48
        .size:           8
        .value_kind:     global_buffer
      - .actual_access:  read_only
        .address_space:  global
        .offset:         56
        .size:           8
        .value_kind:     global_buffer
      - .actual_access:  read_only
        .address_space:  global
        .offset:         64
        .size:           8
        .value_kind:     global_buffer
      - .actual_access:  read_only
        .address_space:  global
        .offset:         72
        .size:           8
        .value_kind:     global_buffer
      - .actual_access:  write_only
        .address_space:  global
        .offset:         80
        .size:           8
        .value_kind:     global_buffer
      - .address_space:  global
        .offset:         88
        .size:           8
        .value_kind:     global_buffer
      - .offset:         96
        .size:           4
        .value_kind:     by_value
      - .offset:         100
        .size:           4
        .value_kind:     by_value
      - .offset:         104
        .size:           4
        .value_kind:     by_value
      - .offset:         108
        .size:           4
        .value_kind:     by_value
      - .offset:         112
        .size:           1
        .value_kind:     by_value
      - .offset:         113
        .size:           1
        .value_kind:     by_value
    .group_segment_fixed_size: 10244
    .kernarg_segment_align: 8
    .kernarg_segment_size: 116
    .language:       OpenCL C
    .language_version:
      - 2
      - 0
    .max_flat_workgroup_size: 512
    .name:           _ZN9rocsparseL45csrgemm_symbolic_fill_block_per_row_multipassILj512ELj16ELj2048ELj64EliEEvT4_PKS1_S3_PKT3_S3_S6_S3_S6_S3_S6_PS1_PS4_21rocsparse_index_base_S9_S9_S9_bb
    .private_segment_fixed_size: 0
    .sgpr_count:     75
    .sgpr_spill_count: 0
    .symbol:         _ZN9rocsparseL45csrgemm_symbolic_fill_block_per_row_multipassILj512ELj16ELj2048ELj64EliEEvT4_PKS1_S3_PKT3_S3_S6_S3_S6_S3_S6_PS1_PS4_21rocsparse_index_base_S9_S9_S9_bb.kd
    .uniform_work_group_size: 1
    .uses_dynamic_stack: false
    .vgpr_count:     31
    .vgpr_spill_count: 0
    .wavefront_size: 64
  - .args:
      - .offset:         0
        .size:           8
        .value_kind:     by_value
      - .actual_access:  read_only
        .address_space:  global
        .offset:         8
        .size:           8
        .value_kind:     global_buffer
      - .actual_access:  write_only
        .address_space:  global
        .offset:         16
        .size:           8
        .value_kind:     global_buffer
      - .offset:         24
        .size:           4
        .value_kind:     hidden_block_count_x
      - .offset:         28
        .size:           4
        .value_kind:     hidden_block_count_y
      - .offset:         32
        .size:           4
        .value_kind:     hidden_block_count_z
      - .offset:         36
        .size:           2
        .value_kind:     hidden_group_size_x
      - .offset:         38
        .size:           2
        .value_kind:     hidden_group_size_y
      - .offset:         40
        .size:           2
        .value_kind:     hidden_group_size_z
      - .offset:         42
        .size:           2
        .value_kind:     hidden_remainder_x
      - .offset:         44
        .size:           2
        .value_kind:     hidden_remainder_y
      - .offset:         46
        .size:           2
        .value_kind:     hidden_remainder_z
      - .offset:         64
        .size:           8
        .value_kind:     hidden_global_offset_x
      - .offset:         72
        .size:           8
        .value_kind:     hidden_global_offset_y
      - .offset:         80
        .size:           8
        .value_kind:     hidden_global_offset_z
      - .offset:         88
        .size:           2
        .value_kind:     hidden_grid_dims
    .group_segment_fixed_size: 2048
    .kernarg_segment_align: 8
    .kernarg_segment_size: 280
    .language:       OpenCL C
    .language_version:
      - 2
      - 0
    .max_flat_workgroup_size: 256
    .name:           _ZN9rocsparseL34csrgemm_symbolic_max_row_nnz_part1ILj256EllEEvT1_PKT0_PS1_
    .private_segment_fixed_size: 0
    .sgpr_count:     18
    .sgpr_spill_count: 0
    .symbol:         _ZN9rocsparseL34csrgemm_symbolic_max_row_nnz_part1ILj256EllEEvT1_PKT0_PS1_.kd
    .uniform_work_group_size: 1
    .uses_dynamic_stack: false
    .vgpr_count:     12
    .vgpr_spill_count: 0
    .wavefront_size: 64
  - .args:
      - .address_space:  global
        .offset:         0
        .size:           8
        .value_kind:     global_buffer
    .group_segment_fixed_size: 2048
    .kernarg_segment_align: 8
    .kernarg_segment_size: 8
    .language:       OpenCL C
    .language_version:
      - 2
      - 0
    .max_flat_workgroup_size: 256
    .name:           _ZN9rocsparseL34csrgemm_symbolic_max_row_nnz_part2ILj256ElEEvPT0_
    .private_segment_fixed_size: 0
    .sgpr_count:     10
    .sgpr_spill_count: 0
    .symbol:         _ZN9rocsparseL34csrgemm_symbolic_max_row_nnz_part2ILj256ElEEvPT0_.kd
    .uniform_work_group_size: 1
    .uses_dynamic_stack: false
    .vgpr_count:     6
    .vgpr_spill_count: 0
    .wavefront_size: 64
  - .args:
      - .offset:         0
        .size:           8
        .value_kind:     by_value
      - .actual_access:  read_only
        .address_space:  global
        .offset:         8
        .size:           8
        .value_kind:     global_buffer
      - .actual_access:  write_only
        .address_space:  global
        .offset:         16
        .size:           8
        .value_kind:     global_buffer
      - .actual_access:  write_only
        .address_space:  global
        .offset:         24
        .size:           8
        .value_kind:     global_buffer
      - .offset:         32
        .size:           4
        .value_kind:     by_value
      - .offset:         40
        .size:           4
        .value_kind:     hidden_block_count_x
      - .offset:         44
        .size:           4
        .value_kind:     hidden_block_count_y
      - .offset:         48
        .size:           4
        .value_kind:     hidden_block_count_z
      - .offset:         52
        .size:           2
        .value_kind:     hidden_group_size_x
      - .offset:         54
        .size:           2
        .value_kind:     hidden_group_size_y
      - .offset:         56
        .size:           2
        .value_kind:     hidden_group_size_z
      - .offset:         58
        .size:           2
        .value_kind:     hidden_remainder_x
      - .offset:         60
        .size:           2
        .value_kind:     hidden_remainder_y
      - .offset:         62
        .size:           2
        .value_kind:     hidden_remainder_z
      - .offset:         80
        .size:           8
        .value_kind:     hidden_global_offset_x
      - .offset:         88
        .size:           8
        .value_kind:     hidden_global_offset_y
      - .offset:         96
        .size:           8
        .value_kind:     hidden_global_offset_z
      - .offset:         104
        .size:           2
        .value_kind:     hidden_grid_dims
    .group_segment_fixed_size: 22528
    .kernarg_segment_align: 8
    .kernarg_segment_size: 296
    .language:       OpenCL C
    .language_version:
      - 2
      - 0
    .max_flat_workgroup_size: 256
    .name:           _ZN9rocsparseL35csrgemm_symbolic_group_reduce_part2ILj256ELj11EllEEvT2_PKT1_PS1_Pij
    .private_segment_fixed_size: 0
    .sgpr_count:     68
    .sgpr_spill_count: 0
    .symbol:         _ZN9rocsparseL35csrgemm_symbolic_group_reduce_part2ILj256ELj11EllEEvT2_PKT1_PS1_Pij.kd
    .uniform_work_group_size: 1
    .uses_dynamic_stack: false
    .vgpr_count:     34
    .vgpr_spill_count: 0
    .wavefront_size: 64
  - .args:
      - .address_space:  global
        .offset:         0
        .size:           8
        .value_kind:     global_buffer
    .group_segment_fixed_size: 22528
    .kernarg_segment_align: 8
    .kernarg_segment_size: 8
    .language:       OpenCL C
    .language_version:
      - 2
      - 0
    .max_flat_workgroup_size: 256
    .name:           _ZN9rocsparseL35csrgemm_symbolic_group_reduce_part3ILj256ELj11ElEEvPT1_
    .private_segment_fixed_size: 0
    .sgpr_count:     10
    .sgpr_spill_count: 0
    .symbol:         _ZN9rocsparseL35csrgemm_symbolic_group_reduce_part3ILj256ELj11ElEEvPT1_.kd
    .uniform_work_group_size: 1
    .uses_dynamic_stack: false
    .vgpr_count:     34
    .vgpr_spill_count: 0
    .wavefront_size: 64
  - .args:
      - .offset:         0
        .size:           8
        .value_kind:     by_value
      - .offset:         8
        .size:           8
        .value_kind:     by_value
      - .actual_access:  read_only
        .address_space:  global
        .offset:         16
        .size:           8
        .value_kind:     global_buffer
      - .actual_access:  read_only
        .address_space:  global
        .offset:         24
        .size:           8
        .value_kind:     global_buffer
      - .actual_access:  read_only
        .address_space:  global
        .offset:         32
        .size:           8
        .value_kind:     global_buffer
      - .actual_access:  read_only
        .address_space:  global
        .offset:         40
        .size:           8
        .value_kind:     global_buffer
      - .actual_access:  read_only
        .address_space:  global
        .offset:         48
        .size:           8
        .value_kind:     global_buffer
      - .actual_access:  read_only
        .address_space:  global
        .offset:         56
        .size:           8
        .value_kind:     global_buffer
      - .actual_access:  read_only
        .address_space:  global
        .offset:         64
        .size:           8
        .value_kind:     global_buffer
      - .actual_access:  read_only
        .address_space:  global
        .offset:         72
        .size:           8
        .value_kind:     global_buffer
      - .actual_access:  read_only
        .address_space:  global
        .offset:         80
        .size:           8
        .value_kind:     global_buffer
      - .actual_access:  write_only
        .address_space:  global
        .offset:         88
        .size:           8
        .value_kind:     global_buffer
      - .offset:         96
        .size:           4
        .value_kind:     by_value
      - .offset:         100
        .size:           4
        .value_kind:     by_value
      - .offset:         104
        .size:           4
        .value_kind:     by_value
      - .offset:         108
        .size:           4
        .value_kind:     by_value
      - .offset:         112
        .size:           1
        .value_kind:     by_value
      - .offset:         113
        .size:           1
        .value_kind:     by_value
    .group_segment_fixed_size: 4096
    .kernarg_segment_align: 8
    .kernarg_segment_size: 116
    .language:       OpenCL C
    .language_version:
      - 2
      - 0
    .max_flat_workgroup_size: 256
    .name:           _ZN9rocsparseL32csrgemm_symbolic_fill_wf_per_rowILj256ELj8ELj16ELj137EllEEvT4_S1_PKS1_S3_PKT3_S3_S6_S3_S6_S3_S6_PS1_21rocsparse_index_base_S8_S8_S8_bb
    .private_segment_fixed_size: 0
    .sgpr_count:     48
    .sgpr_spill_count: 0
    .symbol:         _ZN9rocsparseL32csrgemm_symbolic_fill_wf_per_rowILj256ELj8ELj16ELj137EllEEvT4_S1_PKS1_S3_PKT3_S3_S6_S3_S6_S3_S6_PS1_21rocsparse_index_base_S8_S8_S8_bb.kd
    .uniform_work_group_size: 1
    .uses_dynamic_stack: false
    .vgpr_count:     22
    .vgpr_spill_count: 0
    .wavefront_size: 64
  - .args:
      - .offset:         0
        .size:           8
        .value_kind:     by_value
      - .offset:         8
        .size:           8
        .value_kind:     by_value
      - .actual_access:  read_only
        .address_space:  global
        .offset:         16
        .size:           8
        .value_kind:     global_buffer
      - .actual_access:  read_only
        .address_space:  global
        .offset:         24
        .size:           8
        .value_kind:     global_buffer
      - .actual_access:  read_only
        .address_space:  global
        .offset:         32
        .size:           8
        .value_kind:     global_buffer
      - .actual_access:  read_only
        .address_space:  global
        .offset:         40
        .size:           8
        .value_kind:     global_buffer
      - .actual_access:  read_only
        .address_space:  global
        .offset:         48
        .size:           8
        .value_kind:     global_buffer
      - .actual_access:  read_only
        .address_space:  global
        .offset:         56
        .size:           8
        .value_kind:     global_buffer
      - .actual_access:  read_only
        .address_space:  global
        .offset:         64
        .size:           8
        .value_kind:     global_buffer
      - .actual_access:  read_only
        .address_space:  global
        .offset:         72
        .size:           8
        .value_kind:     global_buffer
      - .actual_access:  read_only
        .address_space:  global
        .offset:         80
        .size:           8
        .value_kind:     global_buffer
      - .actual_access:  write_only
        .address_space:  global
        .offset:         88
        .size:           8
        .value_kind:     global_buffer
      - .offset:         96
        .size:           4
        .value_kind:     by_value
      - .offset:         100
        .size:           4
        .value_kind:     by_value
      - .offset:         104
        .size:           4
        .value_kind:     by_value
      - .offset:         108
        .size:           4
        .value_kind:     by_value
      - .offset:         112
        .size:           1
        .value_kind:     by_value
      - .offset:         113
        .size:           1
        .value_kind:     by_value
    .group_segment_fixed_size: 4096
    .kernarg_segment_align: 8
    .kernarg_segment_size: 116
    .language:       OpenCL C
    .language_version:
      - 2
      - 0
    .max_flat_workgroup_size: 256
    .name:           _ZN9rocsparseL32csrgemm_symbolic_fill_wf_per_rowILj256ELj16ELj32ELj137EllEEvT4_S1_PKS1_S3_PKT3_S3_S6_S3_S6_S3_S6_PS1_21rocsparse_index_base_S8_S8_S8_bb
    .private_segment_fixed_size: 0
    .sgpr_count:     68
    .sgpr_spill_count: 0
    .symbol:         _ZN9rocsparseL32csrgemm_symbolic_fill_wf_per_rowILj256ELj16ELj32ELj137EllEEvT4_S1_PKS1_S3_PKT3_S3_S6_S3_S6_S3_S6_PS1_21rocsparse_index_base_S8_S8_S8_bb.kd
    .uniform_work_group_size: 1
    .uses_dynamic_stack: false
    .vgpr_count:     22
    .vgpr_spill_count: 0
    .wavefront_size: 64
  - .args:
      - .offset:         0
        .size:           8
        .value_kind:     by_value
      - .actual_access:  read_only
        .address_space:  global
        .offset:         8
        .size:           8
        .value_kind:     global_buffer
      - .actual_access:  read_only
        .address_space:  global
        .offset:         16
        .size:           8
        .value_kind:     global_buffer
      - .actual_access:  read_only
        .address_space:  global
        .offset:         24
        .size:           8
        .value_kind:     global_buffer
      - .actual_access:  read_only
        .address_space:  global
        .offset:         32
        .size:           8
        .value_kind:     global_buffer
      - .actual_access:  read_only
        .address_space:  global
        .offset:         40
        .size:           8
        .value_kind:     global_buffer
      - .actual_access:  read_only
        .address_space:  global
        .offset:         48
        .size:           8
        .value_kind:     global_buffer
      - .actual_access:  read_only
        .address_space:  global
        .offset:         56
        .size:           8
        .value_kind:     global_buffer
      - .actual_access:  read_only
        .address_space:  global
        .offset:         64
        .size:           8
        .value_kind:     global_buffer
      - .actual_access:  read_only
        .address_space:  global
        .offset:         72
        .size:           8
        .value_kind:     global_buffer
      - .actual_access:  write_only
        .address_space:  global
        .offset:         80
        .size:           8
        .value_kind:     global_buffer
      - .offset:         88
        .size:           4
        .value_kind:     by_value
      - .offset:         92
        .size:           4
        .value_kind:     by_value
      - .offset:         96
        .size:           4
        .value_kind:     by_value
      - .offset:         100
        .size:           4
        .value_kind:     by_value
      - .offset:         104
        .size:           1
        .value_kind:     by_value
      - .offset:         105
        .size:           1
        .value_kind:     by_value
    .group_segment_fixed_size: 0
    .kernarg_segment_align: 8
    .kernarg_segment_size: 108
    .language:       OpenCL C
    .language_version:
      - 2
      - 0
    .max_flat_workgroup_size: 128
    .name:           _ZN9rocsparseL35csrgemm_symbolic_fill_block_per_rowILj128ELj16ELj256ELj137ELj32EllEEvT5_PKS1_S3_PKT4_S3_S6_S3_S6_S3_S6_PS1_21rocsparse_index_base_S8_S8_S8_bb
    .private_segment_fixed_size: 0
    .sgpr_count:     51
    .sgpr_spill_count: 0
    .symbol:         _ZN9rocsparseL35csrgemm_symbolic_fill_block_per_rowILj128ELj16ELj256ELj137ELj32EllEEvT5_PKS1_S3_PKT4_S3_S6_S3_S6_S3_S6_PS1_21rocsparse_index_base_S8_S8_S8_bb.kd
    .uniform_work_group_size: 1
    .uses_dynamic_stack: false
    .vgpr_count:     22
    .vgpr_spill_count: 0
    .wavefront_size: 64
  - .args:
      - .offset:         0
        .size:           8
        .value_kind:     by_value
      - .actual_access:  read_only
        .address_space:  global
        .offset:         8
        .size:           8
        .value_kind:     global_buffer
      - .actual_access:  read_only
        .address_space:  global
        .offset:         16
        .size:           8
        .value_kind:     global_buffer
      - .actual_access:  read_only
        .address_space:  global
        .offset:         24
        .size:           8
        .value_kind:     global_buffer
      - .actual_access:  read_only
        .address_space:  global
        .offset:         32
        .size:           8
        .value_kind:     global_buffer
      - .actual_access:  read_only
        .address_space:  global
        .offset:         40
        .size:           8
        .value_kind:     global_buffer
      - .actual_access:  read_only
        .address_space:  global
        .offset:         48
        .size:           8
        .value_kind:     global_buffer
      - .actual_access:  read_only
        .address_space:  global
        .offset:         56
        .size:           8
        .value_kind:     global_buffer
      - .actual_access:  read_only
        .address_space:  global
        .offset:         64
        .size:           8
        .value_kind:     global_buffer
      - .actual_access:  read_only
        .address_space:  global
        .offset:         72
        .size:           8
        .value_kind:     global_buffer
      - .actual_access:  write_only
        .address_space:  global
        .offset:         80
        .size:           8
        .value_kind:     global_buffer
      - .offset:         88
        .size:           4
        .value_kind:     by_value
      - .offset:         92
        .size:           4
        .value_kind:     by_value
      - .offset:         96
        .size:           4
        .value_kind:     by_value
      - .offset:         100
        .size:           4
        .value_kind:     by_value
      - .offset:         104
        .size:           1
        .value_kind:     by_value
      - .offset:         105
        .size:           1
        .value_kind:     by_value
    .group_segment_fixed_size: 0
    .kernarg_segment_align: 8
    .kernarg_segment_size: 108
    .language:       OpenCL C
    .language_version:
      - 2
      - 0
    .max_flat_workgroup_size: 128
    .name:           _ZN9rocsparseL35csrgemm_symbolic_fill_block_per_rowILj128ELj16ELj256ELj137ELj64EllEEvT5_PKS1_S3_PKT4_S3_S6_S3_S6_S3_S6_PS1_21rocsparse_index_base_S8_S8_S8_bb
    .private_segment_fixed_size: 0
    .sgpr_count:     51
    .sgpr_spill_count: 0
    .symbol:         _ZN9rocsparseL35csrgemm_symbolic_fill_block_per_rowILj128ELj16ELj256ELj137ELj64EllEEvT5_PKS1_S3_PKT4_S3_S6_S3_S6_S3_S6_PS1_21rocsparse_index_base_S8_S8_S8_bb.kd
    .uniform_work_group_size: 1
    .uses_dynamic_stack: false
    .vgpr_count:     22
    .vgpr_spill_count: 0
    .wavefront_size: 64
  - .args:
      - .offset:         0
        .size:           8
        .value_kind:     by_value
      - .actual_access:  read_only
        .address_space:  global
        .offset:         8
        .size:           8
        .value_kind:     global_buffer
      - .actual_access:  read_only
        .address_space:  global
        .offset:         16
        .size:           8
        .value_kind:     global_buffer
      - .actual_access:  read_only
        .address_space:  global
        .offset:         24
        .size:           8
        .value_kind:     global_buffer
      - .actual_access:  read_only
        .address_space:  global
        .offset:         32
        .size:           8
        .value_kind:     global_buffer
      - .actual_access:  read_only
        .address_space:  global
        .offset:         40
        .size:           8
        .value_kind:     global_buffer
      - .actual_access:  read_only
        .address_space:  global
        .offset:         48
        .size:           8
        .value_kind:     global_buffer
      - .actual_access:  read_only
        .address_space:  global
        .offset:         56
        .size:           8
        .value_kind:     global_buffer
      - .actual_access:  read_only
        .address_space:  global
        .offset:         64
        .size:           8
        .value_kind:     global_buffer
      - .actual_access:  read_only
        .address_space:  global
        .offset:         72
        .size:           8
        .value_kind:     global_buffer
      - .actual_access:  write_only
        .address_space:  global
        .offset:         80
        .size:           8
        .value_kind:     global_buffer
      - .offset:         88
        .size:           4
        .value_kind:     by_value
      - .offset:         92
        .size:           4
        .value_kind:     by_value
      - .offset:         96
        .size:           4
        .value_kind:     by_value
      - .offset:         100
        .size:           4
        .value_kind:     by_value
      - .offset:         104
        .size:           1
        .value_kind:     by_value
      - .offset:         105
        .size:           1
        .value_kind:     by_value
    .group_segment_fixed_size: 0
    .kernarg_segment_align: 8
    .kernarg_segment_size: 108
    .language:       OpenCL C
    .language_version:
      - 2
      - 0
    .max_flat_workgroup_size: 256
    .name:           _ZN9rocsparseL35csrgemm_symbolic_fill_block_per_rowILj256ELj32ELj512ELj137ELj32EllEEvT5_PKS1_S3_PKT4_S3_S6_S3_S6_S3_S6_PS1_21rocsparse_index_base_S8_S8_S8_bb
    .private_segment_fixed_size: 0
    .sgpr_count:     51
    .sgpr_spill_count: 0
    .symbol:         _ZN9rocsparseL35csrgemm_symbolic_fill_block_per_rowILj256ELj32ELj512ELj137ELj32EllEEvT5_PKS1_S3_PKT4_S3_S6_S3_S6_S3_S6_PS1_21rocsparse_index_base_S8_S8_S8_bb.kd
    .uniform_work_group_size: 1
    .uses_dynamic_stack: false
    .vgpr_count:     22
    .vgpr_spill_count: 0
    .wavefront_size: 64
  - .args:
      - .offset:         0
        .size:           8
        .value_kind:     by_value
      - .actual_access:  read_only
        .address_space:  global
        .offset:         8
        .size:           8
        .value_kind:     global_buffer
      - .actual_access:  read_only
        .address_space:  global
        .offset:         16
        .size:           8
        .value_kind:     global_buffer
      - .actual_access:  read_only
        .address_space:  global
        .offset:         24
        .size:           8
        .value_kind:     global_buffer
      - .actual_access:  read_only
        .address_space:  global
        .offset:         32
        .size:           8
        .value_kind:     global_buffer
      - .actual_access:  read_only
        .address_space:  global
        .offset:         40
        .size:           8
        .value_kind:     global_buffer
      - .actual_access:  read_only
        .address_space:  global
        .offset:         48
        .size:           8
        .value_kind:     global_buffer
      - .actual_access:  read_only
        .address_space:  global
        .offset:         56
        .size:           8
        .value_kind:     global_buffer
      - .actual_access:  read_only
        .address_space:  global
        .offset:         64
        .size:           8
        .value_kind:     global_buffer
      - .actual_access:  read_only
        .address_space:  global
        .offset:         72
        .size:           8
        .value_kind:     global_buffer
      - .actual_access:  write_only
        .address_space:  global
        .offset:         80
        .size:           8
        .value_kind:     global_buffer
      - .offset:         88
        .size:           4
        .value_kind:     by_value
      - .offset:         92
        .size:           4
        .value_kind:     by_value
      - .offset:         96
        .size:           4
        .value_kind:     by_value
      - .offset:         100
        .size:           4
        .value_kind:     by_value
      - .offset:         104
        .size:           1
        .value_kind:     by_value
      - .offset:         105
        .size:           1
        .value_kind:     by_value
    .group_segment_fixed_size: 0
    .kernarg_segment_align: 8
    .kernarg_segment_size: 108
    .language:       OpenCL C
    .language_version:
      - 2
      - 0
    .max_flat_workgroup_size: 256
    .name:           _ZN9rocsparseL35csrgemm_symbolic_fill_block_per_rowILj256ELj32ELj512ELj137ELj64EllEEvT5_PKS1_S3_PKT4_S3_S6_S3_S6_S3_S6_PS1_21rocsparse_index_base_S8_S8_S8_bb
    .private_segment_fixed_size: 0
    .sgpr_count:     51
    .sgpr_spill_count: 0
    .symbol:         _ZN9rocsparseL35csrgemm_symbolic_fill_block_per_rowILj256ELj32ELj512ELj137ELj64EllEEvT5_PKS1_S3_PKT4_S3_S6_S3_S6_S3_S6_PS1_21rocsparse_index_base_S8_S8_S8_bb.kd
    .uniform_work_group_size: 1
    .uses_dynamic_stack: false
    .vgpr_count:     22
    .vgpr_spill_count: 0
    .wavefront_size: 64
  - .args:
      - .offset:         0
        .size:           8
        .value_kind:     by_value
      - .actual_access:  read_only
        .address_space:  global
        .offset:         8
        .size:           8
        .value_kind:     global_buffer
      - .actual_access:  read_only
        .address_space:  global
        .offset:         16
        .size:           8
        .value_kind:     global_buffer
      - .actual_access:  read_only
        .address_space:  global
        .offset:         24
        .size:           8
        .value_kind:     global_buffer
      - .actual_access:  read_only
        .address_space:  global
        .offset:         32
        .size:           8
        .value_kind:     global_buffer
      - .actual_access:  read_only
        .address_space:  global
        .offset:         40
        .size:           8
        .value_kind:     global_buffer
      - .actual_access:  read_only
        .address_space:  global
        .offset:         48
        .size:           8
        .value_kind:     global_buffer
      - .actual_access:  read_only
        .address_space:  global
        .offset:         56
        .size:           8
        .value_kind:     global_buffer
      - .actual_access:  read_only
        .address_space:  global
        .offset:         64
        .size:           8
        .value_kind:     global_buffer
      - .actual_access:  read_only
        .address_space:  global
        .offset:         72
        .size:           8
        .value_kind:     global_buffer
      - .actual_access:  write_only
        .address_space:  global
        .offset:         80
        .size:           8
        .value_kind:     global_buffer
      - .offset:         88
        .size:           4
        .value_kind:     by_value
      - .offset:         92
        .size:           4
        .value_kind:     by_value
      - .offset:         96
        .size:           4
        .value_kind:     by_value
      - .offset:         100
        .size:           4
        .value_kind:     by_value
      - .offset:         104
        .size:           1
        .value_kind:     by_value
      - .offset:         105
        .size:           1
        .value_kind:     by_value
    .group_segment_fixed_size: 0
    .kernarg_segment_align: 8
    .kernarg_segment_size: 108
    .language:       OpenCL C
    .language_version:
      - 2
      - 0
    .max_flat_workgroup_size: 512
    .name:           _ZN9rocsparseL35csrgemm_symbolic_fill_block_per_rowILj512ELj32ELj1024ELj137ELj32EllEEvT5_PKS1_S3_PKT4_S3_S6_S3_S6_S3_S6_PS1_21rocsparse_index_base_S8_S8_S8_bb
    .private_segment_fixed_size: 0
    .sgpr_count:     56
    .sgpr_spill_count: 0
    .symbol:         _ZN9rocsparseL35csrgemm_symbolic_fill_block_per_rowILj512ELj32ELj1024ELj137ELj32EllEEvT5_PKS1_S3_PKT4_S3_S6_S3_S6_S3_S6_PS1_21rocsparse_index_base_S8_S8_S8_bb.kd
    .uniform_work_group_size: 1
    .uses_dynamic_stack: false
    .vgpr_count:     22
    .vgpr_spill_count: 0
    .wavefront_size: 64
  - .args:
      - .offset:         0
        .size:           8
        .value_kind:     by_value
      - .actual_access:  read_only
        .address_space:  global
        .offset:         8
        .size:           8
        .value_kind:     global_buffer
      - .actual_access:  read_only
        .address_space:  global
        .offset:         16
        .size:           8
        .value_kind:     global_buffer
      - .actual_access:  read_only
        .address_space:  global
        .offset:         24
        .size:           8
        .value_kind:     global_buffer
      - .actual_access:  read_only
        .address_space:  global
        .offset:         32
        .size:           8
        .value_kind:     global_buffer
      - .actual_access:  read_only
        .address_space:  global
        .offset:         40
        .size:           8
        .value_kind:     global_buffer
      - .actual_access:  read_only
        .address_space:  global
        .offset:         48
        .size:           8
        .value_kind:     global_buffer
      - .actual_access:  read_only
        .address_space:  global
        .offset:         56
        .size:           8
        .value_kind:     global_buffer
      - .actual_access:  read_only
        .address_space:  global
        .offset:         64
        .size:           8
        .value_kind:     global_buffer
      - .actual_access:  read_only
        .address_space:  global
        .offset:         72
        .size:           8
        .value_kind:     global_buffer
      - .actual_access:  write_only
        .address_space:  global
        .offset:         80
        .size:           8
        .value_kind:     global_buffer
      - .offset:         88
        .size:           4
        .value_kind:     by_value
      - .offset:         92
        .size:           4
        .value_kind:     by_value
      - .offset:         96
        .size:           4
        .value_kind:     by_value
      - .offset:         100
        .size:           4
        .value_kind:     by_value
      - .offset:         104
        .size:           1
        .value_kind:     by_value
      - .offset:         105
        .size:           1
        .value_kind:     by_value
    .group_segment_fixed_size: 0
    .kernarg_segment_align: 8
    .kernarg_segment_size: 108
    .language:       OpenCL C
    .language_version:
      - 2
      - 0
    .max_flat_workgroup_size: 512
    .name:           _ZN9rocsparseL35csrgemm_symbolic_fill_block_per_rowILj512ELj32ELj1024ELj137ELj64EllEEvT5_PKS1_S3_PKT4_S3_S6_S3_S6_S3_S6_PS1_21rocsparse_index_base_S8_S8_S8_bb
    .private_segment_fixed_size: 0
    .sgpr_count:     49
    .sgpr_spill_count: 0
    .symbol:         _ZN9rocsparseL35csrgemm_symbolic_fill_block_per_rowILj512ELj32ELj1024ELj137ELj64EllEEvT5_PKS1_S3_PKT4_S3_S6_S3_S6_S3_S6_PS1_21rocsparse_index_base_S8_S8_S8_bb.kd
    .uniform_work_group_size: 1
    .uses_dynamic_stack: false
    .vgpr_count:     22
    .vgpr_spill_count: 0
    .wavefront_size: 64
  - .args:
      - .offset:         0
        .size:           8
        .value_kind:     by_value
      - .actual_access:  read_only
        .address_space:  global
        .offset:         8
        .size:           8
        .value_kind:     global_buffer
      - .actual_access:  read_only
        .address_space:  global
        .offset:         16
        .size:           8
        .value_kind:     global_buffer
      - .actual_access:  read_only
        .address_space:  global
        .offset:         24
        .size:           8
        .value_kind:     global_buffer
      - .actual_access:  read_only
        .address_space:  global
        .offset:         32
        .size:           8
        .value_kind:     global_buffer
      - .actual_access:  read_only
        .address_space:  global
        .offset:         40
        .size:           8
        .value_kind:     global_buffer
      - .actual_access:  read_only
        .address_space:  global
        .offset:         48
        .size:           8
        .value_kind:     global_buffer
      - .actual_access:  read_only
        .address_space:  global
        .offset:         56
        .size:           8
        .value_kind:     global_buffer
      - .actual_access:  read_only
        .address_space:  global
        .offset:         64
        .size:           8
        .value_kind:     global_buffer
      - .actual_access:  read_only
        .address_space:  global
        .offset:         72
        .size:           8
        .value_kind:     global_buffer
      - .actual_access:  write_only
        .address_space:  global
        .offset:         80
        .size:           8
        .value_kind:     global_buffer
      - .offset:         88
        .size:           4
        .value_kind:     by_value
      - .offset:         92
        .size:           4
        .value_kind:     by_value
      - .offset:         96
        .size:           4
        .value_kind:     by_value
      - .offset:         100
        .size:           4
        .value_kind:     by_value
      - .offset:         104
        .size:           1
        .value_kind:     by_value
      - .offset:         105
        .size:           1
        .value_kind:     by_value
    .group_segment_fixed_size: 0
    .kernarg_segment_align: 8
    .kernarg_segment_size: 108
    .language:       OpenCL C
    .language_version:
      - 2
      - 0
    .max_flat_workgroup_size: 1024
    .name:           _ZN9rocsparseL35csrgemm_symbolic_fill_block_per_rowILj1024ELj32ELj2048ELj137ELj32EllEEvT5_PKS1_S3_PKT4_S3_S6_S3_S6_S3_S6_PS1_21rocsparse_index_base_S8_S8_S8_bb
    .private_segment_fixed_size: 0
    .sgpr_count:     86
    .sgpr_spill_count: 0
    .symbol:         _ZN9rocsparseL35csrgemm_symbolic_fill_block_per_rowILj1024ELj32ELj2048ELj137ELj32EllEEvT5_PKS1_S3_PKT4_S3_S6_S3_S6_S3_S6_PS1_21rocsparse_index_base_S8_S8_S8_bb.kd
    .uniform_work_group_size: 1
    .uses_dynamic_stack: false
    .vgpr_count:     22
    .vgpr_spill_count: 0
    .wavefront_size: 64
  - .args:
      - .offset:         0
        .size:           8
        .value_kind:     by_value
      - .actual_access:  read_only
        .address_space:  global
        .offset:         8
        .size:           8
        .value_kind:     global_buffer
      - .actual_access:  read_only
        .address_space:  global
        .offset:         16
        .size:           8
        .value_kind:     global_buffer
      - .actual_access:  read_only
        .address_space:  global
        .offset:         24
        .size:           8
        .value_kind:     global_buffer
      - .actual_access:  read_only
        .address_space:  global
        .offset:         32
        .size:           8
        .value_kind:     global_buffer
      - .actual_access:  read_only
        .address_space:  global
        .offset:         40
        .size:           8
        .value_kind:     global_buffer
      - .actual_access:  read_only
        .address_space:  global
        .offset:         48
        .size:           8
        .value_kind:     global_buffer
      - .actual_access:  read_only
        .address_space:  global
        .offset:         56
        .size:           8
        .value_kind:     global_buffer
      - .actual_access:  read_only
        .address_space:  global
        .offset:         64
        .size:           8
        .value_kind:     global_buffer
      - .actual_access:  read_only
        .address_space:  global
        .offset:         72
        .size:           8
        .value_kind:     global_buffer
      - .actual_access:  write_only
        .address_space:  global
        .offset:         80
        .size:           8
        .value_kind:     global_buffer
      - .offset:         88
        .size:           4
        .value_kind:     by_value
      - .offset:         92
        .size:           4
        .value_kind:     by_value
      - .offset:         96
        .size:           4
        .value_kind:     by_value
      - .offset:         100
        .size:           4
        .value_kind:     by_value
      - .offset:         104
        .size:           1
        .value_kind:     by_value
      - .offset:         105
        .size:           1
        .value_kind:     by_value
    .group_segment_fixed_size: 0
    .kernarg_segment_align: 8
    .kernarg_segment_size: 108
    .language:       OpenCL C
    .language_version:
      - 2
      - 0
    .max_flat_workgroup_size: 1024
    .name:           _ZN9rocsparseL35csrgemm_symbolic_fill_block_per_rowILj1024ELj32ELj2048ELj137ELj64EllEEvT5_PKS1_S3_PKT4_S3_S6_S3_S6_S3_S6_PS1_21rocsparse_index_base_S8_S8_S8_bb
    .private_segment_fixed_size: 0
    .sgpr_count:     56
    .sgpr_spill_count: 0
    .symbol:         _ZN9rocsparseL35csrgemm_symbolic_fill_block_per_rowILj1024ELj32ELj2048ELj137ELj64EllEEvT5_PKS1_S3_PKT4_S3_S6_S3_S6_S3_S6_PS1_21rocsparse_index_base_S8_S8_S8_bb.kd
    .uniform_work_group_size: 1
    .uses_dynamic_stack: false
    .vgpr_count:     22
    .vgpr_spill_count: 0
    .wavefront_size: 64
  - .args:
      - .offset:         0
        .size:           8
        .value_kind:     by_value
      - .actual_access:  read_only
        .address_space:  global
        .offset:         8
        .size:           8
        .value_kind:     global_buffer
      - .actual_access:  read_only
        .address_space:  global
        .offset:         16
        .size:           8
        .value_kind:     global_buffer
      - .actual_access:  read_only
        .address_space:  global
        .offset:         24
        .size:           8
        .value_kind:     global_buffer
      - .actual_access:  read_only
        .address_space:  global
        .offset:         32
        .size:           8
        .value_kind:     global_buffer
      - .actual_access:  read_only
        .address_space:  global
        .offset:         40
        .size:           8
        .value_kind:     global_buffer
      - .actual_access:  read_only
        .address_space:  global
        .offset:         48
        .size:           8
        .value_kind:     global_buffer
      - .actual_access:  read_only
        .address_space:  global
        .offset:         56
        .size:           8
        .value_kind:     global_buffer
      - .actual_access:  read_only
        .address_space:  global
        .offset:         64
        .size:           8
        .value_kind:     global_buffer
      - .actual_access:  read_only
        .address_space:  global
        .offset:         72
        .size:           8
        .value_kind:     global_buffer
      - .actual_access:  write_only
        .address_space:  global
        .offset:         80
        .size:           8
        .value_kind:     global_buffer
      - .offset:         88
        .size:           4
        .value_kind:     by_value
      - .offset:         92
        .size:           4
        .value_kind:     by_value
      - .offset:         96
        .size:           4
        .value_kind:     by_value
      - .offset:         100
        .size:           4
        .value_kind:     by_value
      - .offset:         104
        .size:           1
        .value_kind:     by_value
      - .offset:         105
        .size:           1
        .value_kind:     by_value
    .group_segment_fixed_size: 0
    .kernarg_segment_align: 8
    .kernarg_segment_size: 108
    .language:       OpenCL C
    .language_version:
      - 2
      - 0
    .max_flat_workgroup_size: 1024
    .name:           _ZN9rocsparseL35csrgemm_symbolic_fill_block_per_rowILj1024ELj64ELj4096ELj137ELj32EllEEvT5_PKS1_S3_PKT4_S3_S6_S3_S6_S3_S6_PS1_21rocsparse_index_base_S8_S8_S8_bb
    .private_segment_fixed_size: 0
    .sgpr_count:     86
    .sgpr_spill_count: 0
    .symbol:         _ZN9rocsparseL35csrgemm_symbolic_fill_block_per_rowILj1024ELj64ELj4096ELj137ELj32EllEEvT5_PKS1_S3_PKT4_S3_S6_S3_S6_S3_S6_PS1_21rocsparse_index_base_S8_S8_S8_bb.kd
    .uniform_work_group_size: 1
    .uses_dynamic_stack: false
    .vgpr_count:     22
    .vgpr_spill_count: 0
    .wavefront_size: 64
  - .args:
      - .offset:         0
        .size:           8
        .value_kind:     by_value
      - .actual_access:  read_only
        .address_space:  global
        .offset:         8
        .size:           8
        .value_kind:     global_buffer
      - .actual_access:  read_only
        .address_space:  global
        .offset:         16
        .size:           8
        .value_kind:     global_buffer
      - .actual_access:  read_only
        .address_space:  global
        .offset:         24
        .size:           8
        .value_kind:     global_buffer
      - .actual_access:  read_only
        .address_space:  global
        .offset:         32
        .size:           8
        .value_kind:     global_buffer
      - .actual_access:  read_only
        .address_space:  global
        .offset:         40
        .size:           8
        .value_kind:     global_buffer
      - .actual_access:  read_only
        .address_space:  global
        .offset:         48
        .size:           8
        .value_kind:     global_buffer
      - .actual_access:  read_only
        .address_space:  global
        .offset:         56
        .size:           8
        .value_kind:     global_buffer
      - .actual_access:  read_only
        .address_space:  global
        .offset:         64
        .size:           8
        .value_kind:     global_buffer
      - .actual_access:  read_only
        .address_space:  global
        .offset:         72
        .size:           8
        .value_kind:     global_buffer
      - .actual_access:  write_only
        .address_space:  global
        .offset:         80
        .size:           8
        .value_kind:     global_buffer
      - .offset:         88
        .size:           4
        .value_kind:     by_value
      - .offset:         92
        .size:           4
        .value_kind:     by_value
      - .offset:         96
        .size:           4
        .value_kind:     by_value
      - .offset:         100
        .size:           4
        .value_kind:     by_value
      - .offset:         104
        .size:           1
        .value_kind:     by_value
      - .offset:         105
        .size:           1
        .value_kind:     by_value
    .group_segment_fixed_size: 0
    .kernarg_segment_align: 8
    .kernarg_segment_size: 108
    .language:       OpenCL C
    .language_version:
      - 2
      - 0
    .max_flat_workgroup_size: 1024
    .name:           _ZN9rocsparseL35csrgemm_symbolic_fill_block_per_rowILj1024ELj64ELj4096ELj137ELj64EllEEvT5_PKS1_S3_PKT4_S3_S6_S3_S6_S3_S6_PS1_21rocsparse_index_base_S8_S8_S8_bb
    .private_segment_fixed_size: 0
    .sgpr_count:     56
    .sgpr_spill_count: 0
    .symbol:         _ZN9rocsparseL35csrgemm_symbolic_fill_block_per_rowILj1024ELj64ELj4096ELj137ELj64EllEEvT5_PKS1_S3_PKT4_S3_S6_S3_S6_S3_S6_PS1_21rocsparse_index_base_S8_S8_S8_bb.kd
    .uniform_work_group_size: 1
    .uses_dynamic_stack: false
    .vgpr_count:     22
    .vgpr_spill_count: 0
    .wavefront_size: 64
  - .args:
      - .offset:         0
        .size:           8
        .value_kind:     by_value
      - .actual_access:  read_only
        .address_space:  global
        .offset:         8
        .size:           8
        .value_kind:     global_buffer
      - .actual_access:  read_only
        .address_space:  global
        .offset:         16
        .size:           8
        .value_kind:     global_buffer
      - .actual_access:  read_only
        .address_space:  global
        .offset:         24
        .size:           8
        .value_kind:     global_buffer
      - .actual_access:  read_only
        .address_space:  global
        .offset:         32
        .size:           8
        .value_kind:     global_buffer
      - .actual_access:  read_only
        .address_space:  global
        .offset:         40
        .size:           8
        .value_kind:     global_buffer
      - .actual_access:  read_only
        .address_space:  global
        .offset:         48
        .size:           8
        .value_kind:     global_buffer
      - .actual_access:  read_only
        .address_space:  global
        .offset:         56
        .size:           8
        .value_kind:     global_buffer
      - .actual_access:  read_only
        .address_space:  global
        .offset:         64
        .size:           8
        .value_kind:     global_buffer
      - .actual_access:  read_only
        .address_space:  global
        .offset:         72
        .size:           8
        .value_kind:     global_buffer
      - .actual_access:  write_only
        .address_space:  global
        .offset:         80
        .size:           8
        .value_kind:     global_buffer
      - .offset:         88
        .size:           4
        .value_kind:     by_value
      - .offset:         92
        .size:           4
        .value_kind:     by_value
      - .offset:         96
        .size:           4
        .value_kind:     by_value
      - .offset:         100
        .size:           4
        .value_kind:     by_value
      - .offset:         104
        .size:           1
        .value_kind:     by_value
      - .offset:         105
        .size:           1
        .value_kind:     by_value
    .group_segment_fixed_size: 0
    .kernarg_segment_align: 8
    .kernarg_segment_size: 108
    .language:       OpenCL C
    .language_version:
      - 2
      - 0
    .max_flat_workgroup_size: 1024
    .name:           _ZN9rocsparseL35csrgemm_symbolic_fill_block_per_rowILj1024ELj64ELj8192ELj137ELj32EllEEvT5_PKS1_S3_PKT4_S3_S6_S3_S6_S3_S6_PS1_21rocsparse_index_base_S8_S8_S8_bb
    .private_segment_fixed_size: 0
    .sgpr_count:     100
    .sgpr_spill_count: 19
    .symbol:         _ZN9rocsparseL35csrgemm_symbolic_fill_block_per_rowILj1024ELj64ELj8192ELj137ELj32EllEEvT5_PKS1_S3_PKT4_S3_S6_S3_S6_S3_S6_PS1_21rocsparse_index_base_S8_S8_S8_bb.kd
    .uniform_work_group_size: 1
    .uses_dynamic_stack: false
    .vgpr_count:     23
    .vgpr_spill_count: 0
    .wavefront_size: 64
  - .args:
      - .offset:         0
        .size:           8
        .value_kind:     by_value
      - .actual_access:  read_only
        .address_space:  global
        .offset:         8
        .size:           8
        .value_kind:     global_buffer
      - .actual_access:  read_only
        .address_space:  global
        .offset:         16
        .size:           8
        .value_kind:     global_buffer
      - .actual_access:  read_only
        .address_space:  global
        .offset:         24
        .size:           8
        .value_kind:     global_buffer
      - .actual_access:  read_only
        .address_space:  global
        .offset:         32
        .size:           8
        .value_kind:     global_buffer
      - .actual_access:  read_only
        .address_space:  global
        .offset:         40
        .size:           8
        .value_kind:     global_buffer
      - .actual_access:  read_only
        .address_space:  global
        .offset:         48
        .size:           8
        .value_kind:     global_buffer
      - .actual_access:  read_only
        .address_space:  global
        .offset:         56
        .size:           8
        .value_kind:     global_buffer
      - .actual_access:  read_only
        .address_space:  global
        .offset:         64
        .size:           8
        .value_kind:     global_buffer
      - .actual_access:  read_only
        .address_space:  global
        .offset:         72
        .size:           8
        .value_kind:     global_buffer
      - .actual_access:  write_only
        .address_space:  global
        .offset:         80
        .size:           8
        .value_kind:     global_buffer
      - .offset:         88
        .size:           4
        .value_kind:     by_value
      - .offset:         92
        .size:           4
        .value_kind:     by_value
      - .offset:         96
        .size:           4
        .value_kind:     by_value
      - .offset:         100
        .size:           4
        .value_kind:     by_value
      - .offset:         104
        .size:           1
        .value_kind:     by_value
      - .offset:         105
        .size:           1
        .value_kind:     by_value
    .group_segment_fixed_size: 0
    .kernarg_segment_align: 8
    .kernarg_segment_size: 108
    .language:       OpenCL C
    .language_version:
      - 2
      - 0
    .max_flat_workgroup_size: 1024
    .name:           _ZN9rocsparseL35csrgemm_symbolic_fill_block_per_rowILj1024ELj64ELj8192ELj137ELj64EllEEvT5_PKS1_S3_PKT4_S3_S6_S3_S6_S3_S6_PS1_21rocsparse_index_base_S8_S8_S8_bb
    .private_segment_fixed_size: 0
    .sgpr_count:     67
    .sgpr_spill_count: 0
    .symbol:         _ZN9rocsparseL35csrgemm_symbolic_fill_block_per_rowILj1024ELj64ELj8192ELj137ELj64EllEEvT5_PKS1_S3_PKT4_S3_S6_S3_S6_S3_S6_PS1_21rocsparse_index_base_S8_S8_S8_bb.kd
    .uniform_work_group_size: 1
    .uses_dynamic_stack: false
    .vgpr_count:     22
    .vgpr_spill_count: 0
    .wavefront_size: 64
  - .args:
      - .offset:         0
        .size:           8
        .value_kind:     by_value
      - .actual_access:  read_only
        .address_space:  global
        .offset:         8
        .size:           8
        .value_kind:     global_buffer
      - .actual_access:  read_only
        .address_space:  global
        .offset:         16
        .size:           8
        .value_kind:     global_buffer
      - .actual_access:  read_only
        .address_space:  global
        .offset:         24
        .size:           8
        .value_kind:     global_buffer
      - .actual_access:  read_only
        .address_space:  global
        .offset:         32
        .size:           8
        .value_kind:     global_buffer
      - .actual_access:  read_only
        .address_space:  global
        .offset:         40
        .size:           8
        .value_kind:     global_buffer
      - .actual_access:  read_only
        .address_space:  global
        .offset:         48
        .size:           8
        .value_kind:     global_buffer
      - .actual_access:  read_only
        .address_space:  global
        .offset:         56
        .size:           8
        .value_kind:     global_buffer
      - .actual_access:  read_only
        .address_space:  global
        .offset:         64
        .size:           8
        .value_kind:     global_buffer
      - .actual_access:  read_only
        .address_space:  global
        .offset:         72
        .size:           8
        .value_kind:     global_buffer
      - .actual_access:  write_only
        .address_space:  global
        .offset:         80
        .size:           8
        .value_kind:     global_buffer
      - .offset:         88
        .size:           4
        .value_kind:     by_value
      - .offset:         92
        .size:           4
        .value_kind:     by_value
      - .offset:         96
        .size:           4
        .value_kind:     by_value
      - .offset:         100
        .size:           4
        .value_kind:     by_value
      - .offset:         104
        .size:           1
        .value_kind:     by_value
      - .offset:         105
        .size:           1
        .value_kind:     by_value
    .group_segment_fixed_size: 0
    .kernarg_segment_align: 8
    .kernarg_segment_size: 108
    .language:       OpenCL C
    .language_version:
      - 2
      - 0
    .max_flat_workgroup_size: 1024
    .name:           _ZN9rocsparseL35csrgemm_symbolic_fill_block_per_rowILj1024ELj64ELj16384ELj137ELj32EllEEvT5_PKS1_S3_PKT4_S3_S6_S3_S6_S3_S6_PS1_21rocsparse_index_base_S8_S8_S8_bb
    .private_segment_fixed_size: 0
    .sgpr_count:     100
    .sgpr_spill_count: 21
    .symbol:         _ZN9rocsparseL35csrgemm_symbolic_fill_block_per_rowILj1024ELj64ELj16384ELj137ELj32EllEEvT5_PKS1_S3_PKT4_S3_S6_S3_S6_S3_S6_PS1_21rocsparse_index_base_S8_S8_S8_bb.kd
    .uniform_work_group_size: 1
    .uses_dynamic_stack: false
    .vgpr_count:     23
    .vgpr_spill_count: 0
    .wavefront_size: 64
  - .args:
      - .offset:         0
        .size:           8
        .value_kind:     by_value
      - .actual_access:  read_only
        .address_space:  global
        .offset:         8
        .size:           8
        .value_kind:     global_buffer
      - .actual_access:  read_only
        .address_space:  global
        .offset:         16
        .size:           8
        .value_kind:     global_buffer
      - .actual_access:  read_only
        .address_space:  global
        .offset:         24
        .size:           8
        .value_kind:     global_buffer
      - .actual_access:  read_only
        .address_space:  global
        .offset:         32
        .size:           8
        .value_kind:     global_buffer
      - .actual_access:  read_only
        .address_space:  global
        .offset:         40
        .size:           8
        .value_kind:     global_buffer
      - .actual_access:  read_only
        .address_space:  global
        .offset:         48
        .size:           8
        .value_kind:     global_buffer
      - .actual_access:  read_only
        .address_space:  global
        .offset:         56
        .size:           8
        .value_kind:     global_buffer
      - .actual_access:  read_only
        .address_space:  global
        .offset:         64
        .size:           8
        .value_kind:     global_buffer
      - .actual_access:  read_only
        .address_space:  global
        .offset:         72
        .size:           8
        .value_kind:     global_buffer
      - .actual_access:  write_only
        .address_space:  global
        .offset:         80
        .size:           8
        .value_kind:     global_buffer
      - .offset:         88
        .size:           4
        .value_kind:     by_value
      - .offset:         92
        .size:           4
        .value_kind:     by_value
      - .offset:         96
        .size:           4
        .value_kind:     by_value
      - .offset:         100
        .size:           4
        .value_kind:     by_value
      - .offset:         104
        .size:           1
        .value_kind:     by_value
      - .offset:         105
        .size:           1
        .value_kind:     by_value
    .group_segment_fixed_size: 0
    .kernarg_segment_align: 8
    .kernarg_segment_size: 108
    .language:       OpenCL C
    .language_version:
      - 2
      - 0
    .max_flat_workgroup_size: 1024
    .name:           _ZN9rocsparseL35csrgemm_symbolic_fill_block_per_rowILj1024ELj64ELj16384ELj137ELj64EllEEvT5_PKS1_S3_PKT4_S3_S6_S3_S6_S3_S6_PS1_21rocsparse_index_base_S8_S8_S8_bb
    .private_segment_fixed_size: 0
    .sgpr_count:     67
    .sgpr_spill_count: 0
    .symbol:         _ZN9rocsparseL35csrgemm_symbolic_fill_block_per_rowILj1024ELj64ELj16384ELj137ELj64EllEEvT5_PKS1_S3_PKT4_S3_S6_S3_S6_S3_S6_PS1_21rocsparse_index_base_S8_S8_S8_bb.kd
    .uniform_work_group_size: 1
    .uses_dynamic_stack: false
    .vgpr_count:     22
    .vgpr_spill_count: 0
    .wavefront_size: 64
  - .args:
      - .offset:         0
        .size:           8
        .value_kind:     by_value
      - .actual_access:  read_only
        .address_space:  global
        .offset:         8
        .size:           8
        .value_kind:     global_buffer
      - .actual_access:  read_only
        .address_space:  global
        .offset:         16
        .size:           8
        .value_kind:     global_buffer
      - .actual_access:  read_only
        .address_space:  global
        .offset:         24
        .size:           8
        .value_kind:     global_buffer
      - .actual_access:  read_only
        .address_space:  global
        .offset:         32
        .size:           8
        .value_kind:     global_buffer
      - .actual_access:  read_only
        .address_space:  global
        .offset:         40
        .size:           8
        .value_kind:     global_buffer
      - .actual_access:  read_only
        .address_space:  global
        .offset:         48
        .size:           8
        .value_kind:     global_buffer
      - .actual_access:  read_only
        .address_space:  global
        .offset:         56
        .size:           8
        .value_kind:     global_buffer
      - .actual_access:  read_only
        .address_space:  global
        .offset:         64
        .size:           8
        .value_kind:     global_buffer
      - .actual_access:  read_only
        .address_space:  global
        .offset:         72
        .size:           8
        .value_kind:     global_buffer
      - .actual_access:  write_only
        .address_space:  global
        .offset:         80
        .size:           8
        .value_kind:     global_buffer
      - .offset:         88
        .size:           4
        .value_kind:     by_value
      - .offset:         92
        .size:           4
        .value_kind:     by_value
      - .offset:         96
        .size:           4
        .value_kind:     by_value
      - .offset:         100
        .size:           4
        .value_kind:     by_value
      - .offset:         104
        .size:           1
        .value_kind:     by_value
      - .offset:         105
        .size:           1
        .value_kind:     by_value
    .group_segment_fixed_size: 0
    .kernarg_segment_align: 8
    .kernarg_segment_size: 108
    .language:       OpenCL C
    .language_version:
      - 2
      - 0
    .max_flat_workgroup_size: 1024
    .name:           _ZN9rocsparseL35csrgemm_symbolic_fill_block_per_rowILj1024ELj64ELj32768ELj137ELj32EllEEvT5_PKS1_S3_PKT4_S3_S6_S3_S6_S3_S6_PS1_21rocsparse_index_base_S8_S8_S8_bb
    .private_segment_fixed_size: 0
    .sgpr_count:     100
    .sgpr_spill_count: 21
    .symbol:         _ZN9rocsparseL35csrgemm_symbolic_fill_block_per_rowILj1024ELj64ELj32768ELj137ELj32EllEEvT5_PKS1_S3_PKT4_S3_S6_S3_S6_S3_S6_PS1_21rocsparse_index_base_S8_S8_S8_bb.kd
    .uniform_work_group_size: 1
    .uses_dynamic_stack: false
    .vgpr_count:     23
    .vgpr_spill_count: 0
    .wavefront_size: 64
  - .args:
      - .offset:         0
        .size:           8
        .value_kind:     by_value
      - .actual_access:  read_only
        .address_space:  global
        .offset:         8
        .size:           8
        .value_kind:     global_buffer
      - .actual_access:  read_only
        .address_space:  global
        .offset:         16
        .size:           8
        .value_kind:     global_buffer
      - .actual_access:  read_only
        .address_space:  global
        .offset:         24
        .size:           8
        .value_kind:     global_buffer
      - .actual_access:  read_only
        .address_space:  global
        .offset:         32
        .size:           8
        .value_kind:     global_buffer
      - .actual_access:  read_only
        .address_space:  global
        .offset:         40
        .size:           8
        .value_kind:     global_buffer
      - .actual_access:  read_only
        .address_space:  global
        .offset:         48
        .size:           8
        .value_kind:     global_buffer
      - .actual_access:  read_only
        .address_space:  global
        .offset:         56
        .size:           8
        .value_kind:     global_buffer
      - .actual_access:  read_only
        .address_space:  global
        .offset:         64
        .size:           8
        .value_kind:     global_buffer
      - .actual_access:  read_only
        .address_space:  global
        .offset:         72
        .size:           8
        .value_kind:     global_buffer
      - .actual_access:  write_only
        .address_space:  global
        .offset:         80
        .size:           8
        .value_kind:     global_buffer
      - .offset:         88
        .size:           4
        .value_kind:     by_value
      - .offset:         92
        .size:           4
        .value_kind:     by_value
      - .offset:         96
        .size:           4
        .value_kind:     by_value
      - .offset:         100
        .size:           4
        .value_kind:     by_value
      - .offset:         104
        .size:           1
        .value_kind:     by_value
      - .offset:         105
        .size:           1
        .value_kind:     by_value
    .group_segment_fixed_size: 0
    .kernarg_segment_align: 8
    .kernarg_segment_size: 108
    .language:       OpenCL C
    .language_version:
      - 2
      - 0
    .max_flat_workgroup_size: 1024
    .name:           _ZN9rocsparseL35csrgemm_symbolic_fill_block_per_rowILj1024ELj64ELj32768ELj137ELj64EllEEvT5_PKS1_S3_PKT4_S3_S6_S3_S6_S3_S6_PS1_21rocsparse_index_base_S8_S8_S8_bb
    .private_segment_fixed_size: 0
    .sgpr_count:     67
    .sgpr_spill_count: 0
    .symbol:         _ZN9rocsparseL35csrgemm_symbolic_fill_block_per_rowILj1024ELj64ELj32768ELj137ELj64EllEEvT5_PKS1_S3_PKT4_S3_S6_S3_S6_S3_S6_PS1_21rocsparse_index_base_S8_S8_S8_bb.kd
    .uniform_work_group_size: 1
    .uses_dynamic_stack: false
    .vgpr_count:     22
    .vgpr_spill_count: 0
    .wavefront_size: 64
  - .args:
      - .offset:         0
        .size:           8
        .value_kind:     by_value
      - .actual_access:  read_only
        .address_space:  global
        .offset:         8
        .size:           8
        .value_kind:     global_buffer
      - .actual_access:  read_only
        .address_space:  global
        .offset:         16
        .size:           8
        .value_kind:     global_buffer
      - .actual_access:  read_only
        .address_space:  global
        .offset:         24
        .size:           8
        .value_kind:     global_buffer
      - .actual_access:  read_only
        .address_space:  global
        .offset:         32
        .size:           8
        .value_kind:     global_buffer
      - .actual_access:  read_only
        .address_space:  global
        .offset:         40
        .size:           8
        .value_kind:     global_buffer
      - .actual_access:  read_only
        .address_space:  global
        .offset:         48
        .size:           8
        .value_kind:     global_buffer
      - .actual_access:  read_only
        .address_space:  global
        .offset:         56
        .size:           8
        .value_kind:     global_buffer
      - .actual_access:  read_only
        .address_space:  global
        .offset:         64
        .size:           8
        .value_kind:     global_buffer
      - .actual_access:  read_only
        .address_space:  global
        .offset:         72
        .size:           8
        .value_kind:     global_buffer
      - .actual_access:  write_only
        .address_space:  global
        .offset:         80
        .size:           8
        .value_kind:     global_buffer
      - .address_space:  global
        .offset:         88
        .size:           8
        .value_kind:     global_buffer
      - .offset:         96
        .size:           4
        .value_kind:     by_value
      - .offset:         100
        .size:           4
        .value_kind:     by_value
      - .offset:         104
        .size:           4
        .value_kind:     by_value
      - .offset:         108
        .size:           4
        .value_kind:     by_value
      - .offset:         112
        .size:           1
        .value_kind:     by_value
      - .offset:         113
        .size:           1
        .value_kind:     by_value
    .group_segment_fixed_size: 10248
    .kernarg_segment_align: 8
    .kernarg_segment_size: 116
    .language:       OpenCL C
    .language_version:
      - 2
      - 0
    .max_flat_workgroup_size: 512
    .name:           _ZN9rocsparseL45csrgemm_symbolic_fill_block_per_row_multipassILj512ELj16ELj2048ELj32EllEEvT4_PKS1_S3_PKT3_S3_S6_S3_S6_S3_S6_PS1_PS4_21rocsparse_index_base_S9_S9_S9_bb
    .private_segment_fixed_size: 0
    .sgpr_count:     89
    .sgpr_spill_count: 0
    .symbol:         _ZN9rocsparseL45csrgemm_symbolic_fill_block_per_row_multipassILj512ELj16ELj2048ELj32EllEEvT4_PKS1_S3_PKT3_S3_S6_S3_S6_S3_S6_PS1_PS4_21rocsparse_index_base_S9_S9_S9_bb.kd
    .uniform_work_group_size: 1
    .uses_dynamic_stack: false
    .vgpr_count:     38
    .vgpr_spill_count: 0
    .wavefront_size: 64
  - .args:
      - .offset:         0
        .size:           8
        .value_kind:     by_value
      - .actual_access:  read_only
        .address_space:  global
        .offset:         8
        .size:           8
        .value_kind:     global_buffer
      - .actual_access:  read_only
        .address_space:  global
        .offset:         16
        .size:           8
        .value_kind:     global_buffer
      - .actual_access:  read_only
        .address_space:  global
        .offset:         24
        .size:           8
        .value_kind:     global_buffer
      - .actual_access:  read_only
        .address_space:  global
        .offset:         32
        .size:           8
        .value_kind:     global_buffer
      - .actual_access:  read_only
        .address_space:  global
        .offset:         40
        .size:           8
        .value_kind:     global_buffer
      - .actual_access:  read_only
        .address_space:  global
        .offset:         48
        .size:           8
        .value_kind:     global_buffer
      - .actual_access:  read_only
        .address_space:  global
        .offset:         56
        .size:           8
        .value_kind:     global_buffer
      - .actual_access:  read_only
        .address_space:  global
        .offset:         64
        .size:           8
        .value_kind:     global_buffer
      - .actual_access:  read_only
        .address_space:  global
        .offset:         72
        .size:           8
        .value_kind:     global_buffer
      - .actual_access:  write_only
        .address_space:  global
        .offset:         80
        .size:           8
        .value_kind:     global_buffer
      - .address_space:  global
        .offset:         88
        .size:           8
        .value_kind:     global_buffer
      - .offset:         96
        .size:           4
        .value_kind:     by_value
      - .offset:         100
        .size:           4
        .value_kind:     by_value
      - .offset:         104
        .size:           4
        .value_kind:     by_value
      - .offset:         108
        .size:           4
        .value_kind:     by_value
      - .offset:         112
        .size:           1
        .value_kind:     by_value
      - .offset:         113
        .size:           1
        .value_kind:     by_value
    .group_segment_fixed_size: 10248
    .kernarg_segment_align: 8
    .kernarg_segment_size: 116
    .language:       OpenCL C
    .language_version:
      - 2
      - 0
    .max_flat_workgroup_size: 512
    .name:           _ZN9rocsparseL45csrgemm_symbolic_fill_block_per_row_multipassILj512ELj16ELj2048ELj64EllEEvT4_PKS1_S3_PKT3_S3_S6_S3_S6_S3_S6_PS1_PS4_21rocsparse_index_base_S9_S9_S9_bb
    .private_segment_fixed_size: 0
    .sgpr_count:     73
    .sgpr_spill_count: 0
    .symbol:         _ZN9rocsparseL45csrgemm_symbolic_fill_block_per_row_multipassILj512ELj16ELj2048ELj64EllEEvT4_PKS1_S3_PKT3_S3_S6_S3_S6_S3_S6_PS1_PS4_21rocsparse_index_base_S9_S9_S9_bb.kd
    .uniform_work_group_size: 1
    .uses_dynamic_stack: false
    .vgpr_count:     38
    .vgpr_spill_count: 0
    .wavefront_size: 64
amdhsa.target:   amdgcn-amd-amdhsa--gfx906
amdhsa.version:
  - 1
  - 2
...

	.end_amdgpu_metadata
